;; amdgpu-corpus repo=ROCm/rocFFT kind=compiled arch=gfx1030 opt=O3
	.text
	.amdgcn_target "amdgcn-amd-amdhsa--gfx1030"
	.amdhsa_code_object_version 6
	.protected	fft_rtc_fwd_len442_factors_17_2_13_wgs_238_tpt_34_halfLds_half_op_CI_CI_unitstride_sbrr_C2R_dirReg ; -- Begin function fft_rtc_fwd_len442_factors_17_2_13_wgs_238_tpt_34_halfLds_half_op_CI_CI_unitstride_sbrr_C2R_dirReg
	.globl	fft_rtc_fwd_len442_factors_17_2_13_wgs_238_tpt_34_halfLds_half_op_CI_CI_unitstride_sbrr_C2R_dirReg
	.p2align	8
	.type	fft_rtc_fwd_len442_factors_17_2_13_wgs_238_tpt_34_halfLds_half_op_CI_CI_unitstride_sbrr_C2R_dirReg,@function
fft_rtc_fwd_len442_factors_17_2_13_wgs_238_tpt_34_halfLds_half_op_CI_CI_unitstride_sbrr_C2R_dirReg: ; @fft_rtc_fwd_len442_factors_17_2_13_wgs_238_tpt_34_halfLds_half_op_CI_CI_unitstride_sbrr_C2R_dirReg
; %bb.0:
	s_load_dwordx4 s[12:15], s[4:5], 0x0
	v_mul_u32_u24_e32 v1, 0x788, v0
	s_clause 0x1
	s_load_dwordx4 s[8:11], s[4:5], 0x58
	s_load_dwordx4 s[16:19], s[4:5], 0x18
	v_mov_b32_e32 v9, 0
	v_mov_b32_e32 v7, 0
	;; [unrolled: 1-line block ×3, first 2 shown]
	v_lshrrev_b32_e32 v1, 16, v1
	v_mad_u64_u32 v[3:4], null, s6, 7, v[1:2]
	v_mov_b32_e32 v4, v9
	v_mov_b32_e32 v1, v7
	;; [unrolled: 1-line block ×5, first 2 shown]
	s_waitcnt lgkmcnt(0)
	v_cmp_lt_u64_e64 s0, s[14:15], 2
	s_and_b32 vcc_lo, exec_lo, s0
	s_cbranch_vccnz .LBB0_8
; %bb.1:
	s_load_dwordx2 s[0:1], s[4:5], 0x10
	v_mov_b32_e32 v7, 0
	v_mov_b32_e32 v8, 0
	s_add_u32 s2, s18, 8
	v_mov_b32_e32 v12, v4
	s_addc_u32 s3, s19, 0
	v_mov_b32_e32 v1, v7
	v_mov_b32_e32 v11, v3
	s_add_u32 s6, s16, 8
	v_mov_b32_e32 v2, v8
	s_addc_u32 s7, s17, 0
	s_mov_b64 s[22:23], 1
	s_waitcnt lgkmcnt(0)
	s_add_u32 s20, s0, 8
	s_addc_u32 s21, s1, 0
.LBB0_2:                                ; =>This Inner Loop Header: Depth=1
	s_load_dwordx2 s[24:25], s[20:21], 0x0
                                        ; implicit-def: $vgpr5_vgpr6
	s_mov_b32 s0, exec_lo
	s_waitcnt lgkmcnt(0)
	v_or_b32_e32 v10, s25, v12
	v_cmpx_ne_u64_e32 0, v[9:10]
	s_xor_b32 s1, exec_lo, s0
	s_cbranch_execz .LBB0_4
; %bb.3:                                ;   in Loop: Header=BB0_2 Depth=1
	v_cvt_f32_u32_e32 v4, s24
	v_cvt_f32_u32_e32 v5, s25
	s_sub_u32 s0, 0, s24
	s_subb_u32 s26, 0, s25
	v_fmac_f32_e32 v4, 0x4f800000, v5
	v_rcp_f32_e32 v4, v4
	v_mul_f32_e32 v4, 0x5f7ffffc, v4
	v_mul_f32_e32 v5, 0x2f800000, v4
	v_trunc_f32_e32 v5, v5
	v_fmac_f32_e32 v4, 0xcf800000, v5
	v_cvt_u32_f32_e32 v5, v5
	v_cvt_u32_f32_e32 v4, v4
	v_mul_lo_u32 v6, s0, v5
	v_mul_hi_u32 v10, s0, v4
	v_mul_lo_u32 v13, s26, v4
	v_add_nc_u32_e32 v6, v10, v6
	v_mul_lo_u32 v10, s0, v4
	v_add_nc_u32_e32 v6, v6, v13
	v_mul_hi_u32 v13, v4, v10
	v_mul_lo_u32 v14, v4, v6
	v_mul_hi_u32 v15, v4, v6
	v_mul_hi_u32 v16, v5, v10
	v_mul_lo_u32 v10, v5, v10
	v_mul_hi_u32 v17, v5, v6
	v_mul_lo_u32 v6, v5, v6
	v_add_co_u32 v13, vcc_lo, v13, v14
	v_add_co_ci_u32_e32 v14, vcc_lo, 0, v15, vcc_lo
	v_add_co_u32 v10, vcc_lo, v13, v10
	v_add_co_ci_u32_e32 v10, vcc_lo, v14, v16, vcc_lo
	v_add_co_ci_u32_e32 v13, vcc_lo, 0, v17, vcc_lo
	v_add_co_u32 v6, vcc_lo, v10, v6
	v_add_co_ci_u32_e32 v10, vcc_lo, 0, v13, vcc_lo
	v_add_co_u32 v4, vcc_lo, v4, v6
	v_add_co_ci_u32_e32 v5, vcc_lo, v5, v10, vcc_lo
	v_mul_hi_u32 v6, s0, v4
	v_mul_lo_u32 v13, s26, v4
	v_mul_lo_u32 v10, s0, v5
	v_add_nc_u32_e32 v6, v6, v10
	v_mul_lo_u32 v10, s0, v4
	v_add_nc_u32_e32 v6, v6, v13
	v_mul_hi_u32 v13, v4, v10
	v_mul_lo_u32 v14, v4, v6
	v_mul_hi_u32 v15, v4, v6
	v_mul_hi_u32 v16, v5, v10
	v_mul_lo_u32 v10, v5, v10
	v_mul_hi_u32 v17, v5, v6
	v_mul_lo_u32 v6, v5, v6
	v_add_co_u32 v13, vcc_lo, v13, v14
	v_add_co_ci_u32_e32 v14, vcc_lo, 0, v15, vcc_lo
	v_add_co_u32 v10, vcc_lo, v13, v10
	v_add_co_ci_u32_e32 v10, vcc_lo, v14, v16, vcc_lo
	v_add_co_ci_u32_e32 v13, vcc_lo, 0, v17, vcc_lo
	v_add_co_u32 v6, vcc_lo, v10, v6
	v_add_co_ci_u32_e32 v10, vcc_lo, 0, v13, vcc_lo
	v_add_co_u32 v6, vcc_lo, v4, v6
	v_add_co_ci_u32_e32 v10, vcc_lo, v5, v10, vcc_lo
	v_mul_hi_u32 v17, v11, v6
	v_mad_u64_u32 v[13:14], null, v12, v6, 0
	v_mad_u64_u32 v[4:5], null, v11, v10, 0
	;; [unrolled: 1-line block ×3, first 2 shown]
	v_add_co_u32 v4, vcc_lo, v17, v4
	v_add_co_ci_u32_e32 v5, vcc_lo, 0, v5, vcc_lo
	v_add_co_u32 v4, vcc_lo, v4, v13
	v_add_co_ci_u32_e32 v4, vcc_lo, v5, v14, vcc_lo
	v_add_co_ci_u32_e32 v5, vcc_lo, 0, v16, vcc_lo
	v_add_co_u32 v10, vcc_lo, v4, v15
	v_add_co_ci_u32_e32 v6, vcc_lo, 0, v5, vcc_lo
	v_mul_lo_u32 v13, s25, v10
	v_mad_u64_u32 v[4:5], null, s24, v10, 0
	v_mul_lo_u32 v14, s24, v6
	v_sub_co_u32 v4, vcc_lo, v11, v4
	v_add3_u32 v5, v5, v14, v13
	v_sub_nc_u32_e32 v13, v12, v5
	v_subrev_co_ci_u32_e64 v13, s0, s25, v13, vcc_lo
	v_add_co_u32 v14, s0, v10, 2
	v_add_co_ci_u32_e64 v15, s0, 0, v6, s0
	v_sub_co_u32 v16, s0, v4, s24
	v_sub_co_ci_u32_e32 v5, vcc_lo, v12, v5, vcc_lo
	v_subrev_co_ci_u32_e64 v13, s0, 0, v13, s0
	v_cmp_le_u32_e32 vcc_lo, s24, v16
	v_cmp_eq_u32_e64 s0, s25, v5
	v_cndmask_b32_e64 v16, 0, -1, vcc_lo
	v_cmp_le_u32_e32 vcc_lo, s25, v13
	v_cndmask_b32_e64 v17, 0, -1, vcc_lo
	v_cmp_le_u32_e32 vcc_lo, s24, v4
	;; [unrolled: 2-line block ×3, first 2 shown]
	v_cndmask_b32_e64 v18, 0, -1, vcc_lo
	v_cmp_eq_u32_e32 vcc_lo, s25, v13
	v_cndmask_b32_e64 v4, v18, v4, s0
	v_cndmask_b32_e32 v13, v17, v16, vcc_lo
	v_add_co_u32 v16, vcc_lo, v10, 1
	v_add_co_ci_u32_e32 v17, vcc_lo, 0, v6, vcc_lo
	v_cmp_ne_u32_e32 vcc_lo, 0, v13
	v_cndmask_b32_e32 v5, v17, v15, vcc_lo
	v_cndmask_b32_e32 v13, v16, v14, vcc_lo
	v_cmp_ne_u32_e32 vcc_lo, 0, v4
	v_cndmask_b32_e32 v6, v6, v5, vcc_lo
	v_cndmask_b32_e32 v5, v10, v13, vcc_lo
.LBB0_4:                                ;   in Loop: Header=BB0_2 Depth=1
	s_andn2_saveexec_b32 s0, s1
	s_cbranch_execz .LBB0_6
; %bb.5:                                ;   in Loop: Header=BB0_2 Depth=1
	v_cvt_f32_u32_e32 v4, s24
	s_sub_i32 s1, 0, s24
	v_rcp_iflag_f32_e32 v4, v4
	v_mul_f32_e32 v4, 0x4f7ffffe, v4
	v_cvt_u32_f32_e32 v4, v4
	v_mul_lo_u32 v5, s1, v4
	v_mul_hi_u32 v5, v4, v5
	v_add_nc_u32_e32 v4, v4, v5
	v_mul_hi_u32 v4, v11, v4
	v_mul_lo_u32 v5, v4, s24
	v_add_nc_u32_e32 v6, 1, v4
	v_sub_nc_u32_e32 v5, v11, v5
	v_subrev_nc_u32_e32 v10, s24, v5
	v_cmp_le_u32_e32 vcc_lo, s24, v5
	v_cndmask_b32_e32 v5, v5, v10, vcc_lo
	v_cndmask_b32_e32 v4, v4, v6, vcc_lo
	v_cmp_le_u32_e32 vcc_lo, s24, v5
	v_add_nc_u32_e32 v6, 1, v4
	v_cndmask_b32_e32 v5, v4, v6, vcc_lo
	v_mov_b32_e32 v6, v9
.LBB0_6:                                ;   in Loop: Header=BB0_2 Depth=1
	s_or_b32 exec_lo, exec_lo, s0
	v_mul_lo_u32 v4, v6, s24
	v_mul_lo_u32 v10, v5, s25
	s_load_dwordx2 s[0:1], s[6:7], 0x0
	v_mad_u64_u32 v[13:14], null, v5, s24, 0
	s_load_dwordx2 s[24:25], s[2:3], 0x0
	s_add_u32 s22, s22, 1
	s_addc_u32 s23, s23, 0
	s_add_u32 s2, s2, 8
	s_addc_u32 s3, s3, 0
	s_add_u32 s6, s6, 8
	v_add3_u32 v4, v14, v10, v4
	v_sub_co_u32 v10, vcc_lo, v11, v13
	s_addc_u32 s7, s7, 0
	s_add_u32 s20, s20, 8
	v_sub_co_ci_u32_e32 v4, vcc_lo, v12, v4, vcc_lo
	s_addc_u32 s21, s21, 0
	s_waitcnt lgkmcnt(0)
	v_mul_lo_u32 v11, s0, v4
	v_mul_lo_u32 v12, s1, v10
	v_mad_u64_u32 v[7:8], null, s0, v10, v[7:8]
	v_mul_lo_u32 v4, s24, v4
	v_mul_lo_u32 v13, s25, v10
	v_mad_u64_u32 v[1:2], null, s24, v10, v[1:2]
	v_cmp_ge_u64_e64 s0, s[22:23], s[14:15]
	v_add3_u32 v8, v12, v8, v11
	v_add3_u32 v2, v13, v2, v4
	s_and_b32 vcc_lo, exec_lo, s0
	s_cbranch_vccnz .LBB0_8
; %bb.7:                                ;   in Loop: Header=BB0_2 Depth=1
	v_mov_b32_e32 v12, v6
	v_mov_b32_e32 v11, v5
	s_branch .LBB0_2
.LBB0_8:
	v_mul_hi_u32 v4, 0x24924925, v3
	s_load_dwordx2 s[0:1], s[4:5], 0x28
	s_lshl_b64 s[4:5], s[14:15], 3
	s_add_u32 s2, s18, s4
	s_addc_u32 s3, s19, s5
	v_sub_nc_u32_e32 v9, v3, v4
	v_lshrrev_b32_e32 v9, 1, v9
	v_add_nc_u32_e32 v4, v9, v4
	v_mul_hi_u32 v9, 0x7878788, v0
	s_waitcnt lgkmcnt(0)
	v_cmp_gt_u64_e32 vcc_lo, s[0:1], v[5:6]
	v_cmp_le_u64_e64 s0, s[0:1], v[5:6]
	v_lshrrev_b32_e32 v4, 2, v4
	v_mul_lo_u32 v4, v4, 7
	v_sub_nc_u32_e32 v4, v3, v4
                                        ; implicit-def: $vgpr3
	s_and_saveexec_b32 s1, s0
	s_xor_b32 s0, exec_lo, s1
; %bb.9:
	v_mul_u32_u24_e32 v3, 34, v9
                                        ; implicit-def: $vgpr9
                                        ; implicit-def: $vgpr7_vgpr8
	v_sub_nc_u32_e32 v3, v0, v3
                                        ; implicit-def: $vgpr0
; %bb.10:
	s_or_saveexec_b32 s1, s0
	s_load_dwordx2 s[2:3], s[2:3], 0x0
	v_mul_u32_u24_e32 v4, 0x1bb, v4
	v_lshlrev_b32_e32 v26, 2, v4
	s_xor_b32 exec_lo, exec_lo, s1
	s_cbranch_execz .LBB0_14
; %bb.11:
	s_add_u32 s4, s16, s4
	s_addc_u32 s5, s17, s5
	v_lshlrev_b64 v[7:8], 2, v[7:8]
	s_load_dwordx2 s[4:5], s[4:5], 0x0
	s_waitcnt lgkmcnt(0)
	v_mul_lo_u32 v3, s5, v5
	v_mul_lo_u32 v12, s4, v6
	v_mad_u64_u32 v[10:11], null, s4, v5, 0
	s_mov_b32 s4, exec_lo
	v_add3_u32 v11, v11, v12, v3
	v_mul_u32_u24_e32 v3, 34, v9
	v_lshlrev_b64 v[9:10], 2, v[10:11]
	v_sub_nc_u32_e32 v3, v0, v3
	v_lshlrev_b32_e32 v11, 2, v3
	v_add_co_u32 v0, s0, s8, v9
	v_add_co_ci_u32_e64 v9, s0, s9, v10, s0
	v_add_co_u32 v7, s0, v0, v7
	v_add_co_ci_u32_e64 v8, s0, v9, v8, s0
	v_add3_u32 v0, 0, v26, v11
	v_add_co_u32 v9, s0, v7, v11
	v_add_co_ci_u32_e64 v10, s0, 0, v8, s0
	s_clause 0xc
	global_load_dword v12, v[9:10], off
	global_load_dword v13, v[9:10], off offset:136
	global_load_dword v14, v[9:10], off offset:272
	global_load_dword v15, v[9:10], off offset:408
	global_load_dword v16, v[9:10], off offset:544
	global_load_dword v17, v[9:10], off offset:680
	global_load_dword v18, v[9:10], off offset:816
	global_load_dword v19, v[9:10], off offset:952
	global_load_dword v20, v[9:10], off offset:1088
	global_load_dword v21, v[9:10], off offset:1224
	global_load_dword v22, v[9:10], off offset:1360
	global_load_dword v23, v[9:10], off offset:1496
	global_load_dword v9, v[9:10], off offset:1632
	v_add_nc_u32_e32 v10, 0x400, v0
	s_waitcnt vmcnt(11)
	ds_write2_b32 v0, v12, v13 offset1:34
	s_waitcnt vmcnt(9)
	ds_write2_b32 v0, v14, v15 offset0:68 offset1:102
	s_waitcnt vmcnt(7)
	ds_write2_b32 v0, v16, v17 offset0:136 offset1:170
	;; [unrolled: 2-line block ×5, first 2 shown]
	s_waitcnt vmcnt(0)
	ds_write_b32 v0, v9 offset:1632
	v_cmpx_eq_u32_e32 33, v3
	s_cbranch_execz .LBB0_13
; %bb.12:
	global_load_dword v7, v[7:8], off offset:1768
	v_mov_b32_e32 v3, 33
	s_waitcnt vmcnt(0)
	ds_write_b32 v0, v7 offset:1636
.LBB0_13:
	s_or_b32 exec_lo, exec_lo, s4
.LBB0_14:
	s_or_b32 exec_lo, exec_lo, s1
	v_lshl_add_u32 v0, v4, 2, 0
	v_lshlrev_b32_e32 v9, 2, v3
	s_waitcnt lgkmcnt(0)
	s_barrier
	buffer_gl0_inv
	s_mov_b32 s1, exec_lo
	v_add_nc_u32_e32 v25, v0, v9
	v_sub_nc_u32_e32 v10, v0, v9
                                        ; implicit-def: $vgpr7_vgpr8
	ds_read_u16 v13, v25
	ds_read_u16 v14, v10 offset:1768
	s_waitcnt lgkmcnt(0)
	v_add_f16_e32 v12, v14, v13
	v_sub_f16_e32 v11, v13, v14
	v_cmpx_ne_u32_e32 0, v3
	s_xor_b32 s1, exec_lo, s1
	s_cbranch_execz .LBB0_16
; %bb.15:
	v_mov_b32_e32 v4, 0
	v_add_f16_e32 v12, v14, v13
	v_sub_f16_e32 v13, v13, v14
	v_lshlrev_b64 v[7:8], 2, v[3:4]
	v_add_co_u32 v7, s0, s12, v7
	v_add_co_ci_u32_e64 v8, s0, s13, v8, s0
	global_load_dword v7, v[7:8], off offset:1700
	ds_read_u16 v8, v10 offset:1770
	ds_read_u16 v11, v25 offset:2
	s_waitcnt lgkmcnt(0)
	v_add_f16_e32 v14, v8, v11
	v_sub_f16_e32 v8, v11, v8
	s_waitcnt vmcnt(0)
	v_lshrrev_b32_e32 v15, 16, v7
	v_fma_f16 v16, -v13, v15, v12
	v_fma_f16 v17, v14, v15, -v8
	v_fma_f16 v11, v14, v15, v8
	v_fma_f16 v12, v13, v15, v12
	v_fmac_f16_e32 v16, v7, v14
	v_fmac_f16_e32 v17, v13, v7
	;; [unrolled: 1-line block ×3, first 2 shown]
	v_fma_f16 v12, -v7, v14, v12
	v_mov_b32_e32 v8, v4
	v_mov_b32_e32 v7, v3
	v_pack_b32_f16 v13, v16, v17
	ds_write_b32 v10, v13 offset:1768
.LBB0_16:
	s_andn2_saveexec_b32 s0, s1
	s_cbranch_execz .LBB0_18
; %bb.17:
	ds_read_b32 v4, v0 offset:884
	v_mov_b32_e32 v7, 0
	v_mov_b32_e32 v8, 0
	s_waitcnt lgkmcnt(0)
	v_pk_mul_f16 v4, 0xc0004000, v4
	ds_write_b32 v0, v4 offset:884
.LBB0_18:
	s_or_b32 exec_lo, exec_lo, s0
	v_lshlrev_b64 v[7:8], 2, v[7:8]
	s_add_u32 s0, s12, 0x6a4
	s_addc_u32 s1, s13, 0
	v_perm_b32 v11, v11, v12, 0x5040100
	v_add_co_u32 v7, s0, s0, v7
	v_add_co_ci_u32_e64 v8, s0, s1, v8, s0
	v_cmp_gt_u32_e64 s0, 17, v3
	s_clause 0x4
	global_load_dword v4, v[7:8], off offset:136
	global_load_dword v13, v[7:8], off offset:272
	;; [unrolled: 1-line block ×5, first 2 shown]
	ds_write_b32 v25, v11
	ds_read_b32 v11, v25 offset:136
	ds_read_b32 v12, v10 offset:1632
	s_waitcnt lgkmcnt(0)
	v_add_f16_e32 v17, v11, v12
	v_add_f16_sdwa v18, v12, v11 dst_sel:DWORD dst_unused:UNUSED_PAD src0_sel:WORD_1 src1_sel:WORD_1
	v_sub_f16_e32 v19, v11, v12
	v_sub_f16_sdwa v11, v11, v12 dst_sel:DWORD dst_unused:UNUSED_PAD src0_sel:WORD_1 src1_sel:WORD_1
	s_waitcnt vmcnt(4)
	v_lshrrev_b32_e32 v20, 16, v4
	v_fma_f16 v12, v19, v20, v17
	v_fma_f16 v21, v18, v20, v11
	v_fma_f16 v17, -v19, v20, v17
	v_fma_f16 v11, v18, v20, -v11
	v_fma_f16 v12, -v4, v18, v12
	v_fmac_f16_e32 v21, v19, v4
	v_fmac_f16_e32 v17, v4, v18
	;; [unrolled: 1-line block ×3, first 2 shown]
	v_pack_b32_f16 v4, v12, v21
	s_waitcnt vmcnt(3)
	v_lshrrev_b32_e32 v12, 16, v13
	v_pack_b32_f16 v11, v17, v11
	ds_write_b32 v25, v4 offset:136
	ds_write_b32 v10, v11 offset:1632
	ds_read_b32 v4, v25 offset:272
	ds_read_b32 v11, v10 offset:1496
	s_waitcnt lgkmcnt(0)
	v_add_f16_e32 v17, v4, v11
	v_add_f16_sdwa v18, v11, v4 dst_sel:DWORD dst_unused:UNUSED_PAD src0_sel:WORD_1 src1_sel:WORD_1
	v_sub_f16_e32 v19, v4, v11
	v_sub_f16_sdwa v4, v4, v11 dst_sel:DWORD dst_unused:UNUSED_PAD src0_sel:WORD_1 src1_sel:WORD_1
	v_fma_f16 v11, v19, v12, v17
	v_fma_f16 v20, v18, v12, v4
	v_fma_f16 v17, -v19, v12, v17
	v_fma_f16 v4, v18, v12, -v4
	s_waitcnt vmcnt(2)
	v_lshrrev_b32_e32 v12, 16, v14
	v_fma_f16 v11, -v13, v18, v11
	v_fmac_f16_e32 v20, v19, v13
	v_fmac_f16_e32 v17, v13, v18
	v_fmac_f16_e32 v4, v19, v13
	v_pack_b32_f16 v11, v11, v20
	v_pack_b32_f16 v4, v17, v4
	ds_write_b32 v25, v11 offset:272
	ds_write_b32 v10, v4 offset:1496
	ds_read_b32 v4, v25 offset:408
	ds_read_b32 v11, v10 offset:1360
	s_waitcnt lgkmcnt(0)
	v_add_f16_e32 v13, v4, v11
	v_add_f16_sdwa v17, v11, v4 dst_sel:DWORD dst_unused:UNUSED_PAD src0_sel:WORD_1 src1_sel:WORD_1
	v_sub_f16_e32 v18, v4, v11
	v_sub_f16_sdwa v4, v4, v11 dst_sel:DWORD dst_unused:UNUSED_PAD src0_sel:WORD_1 src1_sel:WORD_1
	v_fma_f16 v11, v18, v12, v13
	v_fma_f16 v19, v17, v12, v4
	v_fma_f16 v13, -v18, v12, v13
	v_fma_f16 v4, v17, v12, -v4
	s_waitcnt vmcnt(1)
	v_lshrrev_b32_e32 v12, 16, v15
	v_fma_f16 v11, -v14, v17, v11
	v_fmac_f16_e32 v19, v18, v14
	v_fmac_f16_e32 v13, v14, v17
	v_fmac_f16_e32 v4, v18, v14
	v_pack_b32_f16 v11, v11, v19
	v_pack_b32_f16 v4, v13, v4
	ds_write_b32 v25, v11 offset:408
	ds_write_b32 v10, v4 offset:1360
	ds_read_b32 v4, v25 offset:544
	ds_read_b32 v11, v10 offset:1224
	s_waitcnt lgkmcnt(0)
	v_add_f16_e32 v13, v4, v11
	v_add_f16_sdwa v14, v11, v4 dst_sel:DWORD dst_unused:UNUSED_PAD src0_sel:WORD_1 src1_sel:WORD_1
	v_sub_f16_e32 v17, v4, v11
	v_sub_f16_sdwa v4, v4, v11 dst_sel:DWORD dst_unused:UNUSED_PAD src0_sel:WORD_1 src1_sel:WORD_1
	v_fma_f16 v11, v17, v12, v13
	v_fma_f16 v18, v14, v12, v4
	v_fma_f16 v13, -v17, v12, v13
	v_fma_f16 v4, v14, v12, -v4
	s_waitcnt vmcnt(0)
	v_lshrrev_b32_e32 v12, 16, v16
	v_fma_f16 v11, -v15, v14, v11
	v_fmac_f16_e32 v18, v17, v15
	v_fmac_f16_e32 v13, v15, v14
	v_fmac_f16_e32 v4, v17, v15
	v_pack_b32_f16 v11, v11, v18
	v_pack_b32_f16 v4, v13, v4
	ds_write_b32 v25, v11 offset:544
	ds_write_b32 v10, v4 offset:1224
	ds_read_b32 v4, v25 offset:680
	ds_read_b32 v11, v10 offset:1088
	s_waitcnt lgkmcnt(0)
	v_add_f16_e32 v13, v4, v11
	v_add_f16_sdwa v14, v11, v4 dst_sel:DWORD dst_unused:UNUSED_PAD src0_sel:WORD_1 src1_sel:WORD_1
	v_sub_f16_e32 v15, v4, v11
	v_sub_f16_sdwa v4, v4, v11 dst_sel:DWORD dst_unused:UNUSED_PAD src0_sel:WORD_1 src1_sel:WORD_1
	v_fma_f16 v11, v15, v12, v13
	v_fma_f16 v17, v14, v12, v4
	v_fma_f16 v13, -v15, v12, v13
	v_fma_f16 v4, v14, v12, -v4
	v_fma_f16 v11, -v16, v14, v11
	v_fmac_f16_e32 v17, v15, v16
	v_fmac_f16_e32 v13, v16, v14
	;; [unrolled: 1-line block ×3, first 2 shown]
	v_pack_b32_f16 v11, v11, v17
	v_pack_b32_f16 v4, v13, v4
	ds_write_b32 v25, v11 offset:680
	ds_write_b32 v10, v4 offset:1088
	s_and_saveexec_b32 s1, s0
	s_cbranch_execz .LBB0_20
; %bb.19:
	global_load_dword v4, v[7:8], off offset:816
	ds_read_b32 v7, v25 offset:816
	ds_read_b32 v8, v10 offset:952
	s_waitcnt lgkmcnt(0)
	v_add_f16_e32 v11, v7, v8
	v_add_f16_sdwa v12, v8, v7 dst_sel:DWORD dst_unused:UNUSED_PAD src0_sel:WORD_1 src1_sel:WORD_1
	v_sub_f16_e32 v13, v7, v8
	v_sub_f16_sdwa v7, v7, v8 dst_sel:DWORD dst_unused:UNUSED_PAD src0_sel:WORD_1 src1_sel:WORD_1
	s_waitcnt vmcnt(0)
	v_lshrrev_b32_e32 v14, 16, v4
	v_fma_f16 v8, v13, v14, v11
	v_fma_f16 v15, v12, v14, v7
	v_fma_f16 v11, -v13, v14, v11
	v_fma_f16 v7, v12, v14, -v7
	v_fma_f16 v8, -v4, v12, v8
	v_fmac_f16_e32 v15, v13, v4
	v_fmac_f16_e32 v11, v4, v12
	v_fmac_f16_e32 v7, v13, v4
	v_pack_b32_f16 v4, v8, v15
	v_pack_b32_f16 v7, v11, v7
	ds_write_b32 v25, v4 offset:816
	ds_write_b32 v10, v7 offset:952
.LBB0_20:
	s_or_b32 exec_lo, exec_lo, s1
	v_add3_u32 v4, 0, v9, v26
	s_waitcnt lgkmcnt(0)
	s_barrier
	buffer_gl0_inv
	v_add_nc_u32_e32 v27, 0x400, v4
	s_barrier
	buffer_gl0_inv
	v_add_nc_u32_e32 v30, 0x200, v4
	ds_read2_b32 v[23:24], v4 offset0:26 offset1:52
	ds_read2_b32 v[9:10], v27 offset0:134 offset1:160
	;; [unrolled: 1-line block ×4, first 2 shown]
	ds_read_b32 v31, v25
	v_mov_b32_e32 v49, 0xbbf7
	v_mov_b32_e32 v50, 0xbbb2
	ds_read2_b32 v[15:16], v4 offset0:182 offset1:208
	ds_read2_b32 v[17:18], v4 offset0:130 offset1:156
	;; [unrolled: 1-line block ×4, first 2 shown]
	v_mov_b32_e32 v48, 0xb1e1
	v_mov_b32_e32 v7, 0x3836
	;; [unrolled: 1-line block ×11, first 2 shown]
	s_mov_b32 s4, exec_lo
	s_waitcnt lgkmcnt(0)
	v_pk_add_f16 v37, v23, v10 neg_lo:[0,1] neg_hi:[0,1]
	v_pk_add_f16 v42, v10, v23
	v_pk_add_f16 v35, v24, v9 neg_lo:[0,1] neg_hi:[0,1]
	v_pk_add_f16 v41, v9, v24
	v_pk_add_f16 v33, v21, v12 neg_lo:[0,1] neg_hi:[0,1]
	v_mul_f16_sdwa v75, v37, v49 dst_sel:DWORD dst_unused:UNUSED_PAD src0_sel:WORD_1 src1_sel:DWORD
	v_mul_f16_sdwa v83, v37, v50 dst_sel:DWORD dst_unused:UNUSED_PAD src0_sel:WORD_1 src1_sel:DWORD
	v_pk_add_f16 v32, v22, v11 neg_lo:[0,1] neg_hi:[0,1]
	v_mul_f16_sdwa v72, v35, v48 dst_sel:DWORD dst_unused:UNUSED_PAD src0_sel:WORD_1 src1_sel:DWORD
	v_mul_f16_sdwa v82, v35, v7 dst_sel:DWORD dst_unused:UNUSED_PAD src0_sel:WORD_1 src1_sel:DWORD
	v_fmamk_f16 v7, v42, 0x2de8, v75
	v_fmamk_f16 v28, v42, 0xb461, v83
	v_pk_add_f16 v36, v12, v21
	v_mul_f16_sdwa v70, v33, v53 dst_sel:DWORD dst_unused:UNUSED_PAD src0_sel:WORD_1 src1_sel:DWORD
	v_mul_f16_sdwa v79, v33, v54 dst_sel:DWORD dst_unused:UNUSED_PAD src0_sel:WORD_1 src1_sel:DWORD
	;; [unrolled: 1-line block ×3, first 2 shown]
	v_fmamk_f16 v8, v41, 0xbbdd, v72
	v_fmamk_f16 v29, v41, 0xbacd, v82
	v_add_f16_e32 v7, v31, v7
	v_add_f16_e32 v28, v31, v28
	v_pk_add_f16 v34, v11, v22
	v_mul_f16_sdwa v80, v32, v51 dst_sel:DWORD dst_unused:UNUSED_PAD src0_sel:WORD_1 src1_sel:DWORD
	v_fmamk_f16 v39, v36, 0xb461, v70
	v_fmamk_f16 v40, v36, 0x39e9, v79
	v_add_f16_e32 v7, v8, v7
	v_add_f16_e32 v8, v29, v28
	v_pk_add_f16 v38, v17, v14 neg_lo:[0,1] neg_hi:[0,1]
	v_fmamk_f16 v28, v34, 0x3b76, v69
	v_fmamk_f16 v29, v34, 0x3722, v80
	v_add_f16_e32 v7, v39, v7
	v_add_f16_e32 v8, v40, v8
	v_pk_add_f16 v39, v14, v17
	v_mul_f16_sdwa v73, v38, v51 dst_sel:DWORD dst_unused:UNUSED_PAD src0_sel:WORD_1 src1_sel:DWORD
	v_mul_f16_sdwa v81, v38, v48 dst_sel:DWORD dst_unused:UNUSED_PAD src0_sel:WORD_1 src1_sel:DWORD
	v_pk_add_f16 v40, v18, v13 neg_lo:[0,1] neg_hi:[0,1]
	v_add_f16_e32 v7, v28, v7
	v_add_f16_e32 v8, v29, v8
	v_fmamk_f16 v28, v39, 0x3722, v73
	v_fmamk_f16 v29, v39, 0xbbdd, v81
	v_pk_add_f16 v44, v13, v18
	v_mul_f16_sdwa v76, v40, v56 dst_sel:DWORD dst_unused:UNUSED_PAD src0_sel:WORD_1 src1_sel:DWORD
	v_mul_f16_sdwa v84, v40, v52 dst_sel:DWORD dst_unused:UNUSED_PAD src0_sel:WORD_1 src1_sel:DWORD
	v_pk_add_f16 v43, v15, v20 neg_lo:[0,1] neg_hi:[0,1]
	v_add_f16_e32 v7, v28, v7
	v_add_f16_e32 v8, v29, v8
	v_fmamk_f16 v28, v44, 0xbacd, v76
	v_fmamk_f16 v29, v44, 0x2de8, v84
	v_pk_add_f16 v45, v20, v15
	v_mul_f16_sdwa v77, v43, v65 dst_sel:DWORD dst_unused:UNUSED_PAD src0_sel:WORD_1 src1_sel:DWORD
	v_mul_f16_sdwa v86, v43, v66 dst_sel:DWORD dst_unused:UNUSED_PAD src0_sel:WORD_1 src1_sel:DWORD
	v_add_f16_e32 v7, v28, v7
	v_add_f16_e32 v8, v29, v8
	v_lshrrev_b32_e32 v57, 16, v42
	v_fmamk_f16 v28, v45, 0xb8d2, v77
	v_fmamk_f16 v29, v45, 0x3b76, v86
	v_mul_f16_e32 v91, 0xbbf7, v37
	v_mul_f16_e32 v78, 0xbbb2, v37
	v_lshrrev_b32_e32 v59, 16, v41
	v_add_f16_e32 v7, v28, v7
	v_add_f16_e32 v28, v29, v8
	v_fma_f16 v8, v57, 0x2de8, -v91
	v_mul_f16_e32 v92, 0xb1e1, v35
	v_fma_f16 v29, v57, 0xb461, -v78
	v_mul_f16_e32 v99, 0x3836, v35
	v_lshrrev_b32_e32 v62, 16, v36
	v_add_f16_sdwa v8, v31, v8 dst_sel:DWORD dst_unused:UNUSED_PAD src0_sel:WORD_1 src1_sel:DWORD
	v_fma_f16 v55, v59, 0xbbdd, -v92
	v_add_f16_sdwa v29, v31, v29 dst_sel:DWORD dst_unused:UNUSED_PAD src0_sel:WORD_1 src1_sel:DWORD
	v_fma_f16 v58, v59, 0xbacd, -v99
	v_mul_f16_e32 v93, 0x3bb2, v33
	v_mul_f16_e32 v101, 0x3964, v33
	v_add_f16_e32 v8, v55, v8
	v_mul_f16_e32 v94, 0x35c8, v32
	v_add_f16_e32 v29, v58, v29
	v_fma_f16 v55, v62, 0xb461, -v93
	v_fma_f16 v60, v62, 0x39e9, -v101
	v_lshrrev_b32_e32 v58, 16, v34
	v_mul_f16_e32 v97, 0xbb29, v32
	v_mul_f16_e32 v90, 0xbb29, v38
	v_add_f16_e32 v8, v55, v8
	v_add_f16_e32 v29, v60, v29
	v_fma_f16 v55, v58, 0x3b76, -v94
	v_fma_f16 v61, v58, 0x3722, -v97
	v_lshrrev_b32_e32 v60, 16, v39
	v_mul_f16_e32 v98, 0xb1e1, v38
	v_lshrrev_b32_e32 v63, 16, v44
	v_add_f16_e32 v8, v55, v8
	v_add_f16_e32 v29, v61, v29
	v_fma_f16 v55, v60, 0x3722, -v90
	v_fma_f16 v61, v60, 0xbbdd, -v98
	v_mul_f16_e32 v89, 0xb836, v40
	v_mul_f16_e32 v100, 0x3bf7, v40
	v_pk_add_f16 v46, v16, v19 neg_lo:[0,1] neg_hi:[0,1]
	v_pk_add_f16 v47, v19, v16
	v_add_f16_e32 v8, v55, v8
	v_add_f16_e32 v29, v61, v29
	v_fma_f16 v55, v63, 0xbacd, -v89
	v_fma_f16 v64, v63, 0x2de8, -v100
	v_lshrrev_b32_e32 v61, 16, v45
	v_mul_f16_e32 v88, 0x3a62, v43
	v_mul_f16_e32 v102, 0xb5c8, v43
	v_mul_f16_sdwa v85, v46, v54 dst_sel:DWORD dst_unused:UNUSED_PAD src0_sel:WORD_1 src1_sel:DWORD
	v_mul_f16_sdwa v95, v46, v68 dst_sel:DWORD dst_unused:UNUSED_PAD src0_sel:WORD_1 src1_sel:DWORD
	v_add_f16_e32 v8, v55, v8
	v_add_f16_e32 v29, v64, v29
	v_fma_f16 v55, v61, 0xb8d2, -v88
	v_fma_f16 v71, v61, 0x3b76, -v102
	v_lshrrev_b32_e32 v64, 16, v47
	v_mul_f16_e32 v87, 0x3964, v46
	v_mul_f16_e32 v96, 0xba62, v46
	v_fmamk_f16 v67, v47, 0x39e9, v85
	v_fmamk_f16 v74, v47, 0xb8d2, v95
	v_add_f16_e32 v55, v55, v8
	v_add_f16_e32 v71, v71, v29
	v_fma_f16 v29, v64, 0x39e9, -v87
	v_fma_f16 v103, v64, 0xb8d2, -v96
	v_add_f16_e32 v8, v67, v7
	v_add_f16_e32 v7, v74, v28
	s_barrier
	v_add_f16_e32 v29, v29, v55
	v_add_f16_e32 v28, v103, v71
	buffer_gl0_inv
	v_cmpx_gt_u32_e32 26, v3
	s_cbranch_execz .LBB0_22
; %bb.21:
	v_mul_f16_e32 v67, 0xb8d2, v57
	v_mul_f16_e32 v71, 0xb461, v59
	v_mul_f16_sdwa v103, v37, v68 dst_sel:DWORD dst_unused:UNUSED_PAD src0_sel:WORD_1 src1_sel:DWORD
	v_mul_f16_e32 v74, 0x3b76, v62
	v_mul_f16_sdwa v106, v35, v53 dst_sel:DWORD dst_unused:UNUSED_PAD src0_sel:WORD_1 src1_sel:DWORD
	v_fmamk_f16 v55, v37, 0x3a62, v67
	v_fmamk_f16 v108, v35, 0xbbb2, v71
	;; [unrolled: 1-line block ×3, first 2 shown]
	v_mul_f16_e32 v104, 0xbacd, v58
	v_mul_f16_sdwa v109, v33, v66 dst_sel:DWORD dst_unused:UNUSED_PAD src0_sel:WORD_1 src1_sel:DWORD
	v_add_f16_sdwa v55, v31, v55 dst_sel:DWORD dst_unused:UNUSED_PAD src0_sel:WORD_1 src1_sel:DWORD
	v_fmamk_f16 v110, v41, 0xb461, v106
	v_add_f16_e32 v107, v31, v107
	v_fmamk_f16 v111, v33, 0x35c8, v74
	v_mul_f16_e32 v105, 0x2de8, v60
	v_add_f16_e32 v55, v108, v55
	v_mul_f16_sdwa v108, v32, v56 dst_sel:DWORD dst_unused:UNUSED_PAD src0_sel:WORD_1 src1_sel:DWORD
	v_fmamk_f16 v112, v36, 0x3b76, v109
	v_add_f16_e32 v107, v110, v107
	v_fmamk_f16 v110, v32, 0x3836, v104
	v_add_f16_e32 v55, v111, v55
	v_mul_f16_sdwa v111, v38, v52 dst_sel:DWORD dst_unused:UNUSED_PAD src0_sel:WORD_1 src1_sel:DWORD
	v_fmamk_f16 v52, v34, 0xbacd, v108
	v_add_f16_e32 v107, v112, v107
	v_mov_b32_e32 v112, 0xb964
	v_add_f16_e32 v55, v110, v55
	v_fmamk_f16 v110, v38, 0xbbf7, v105
	v_mul_f16_e32 v113, 0x39e9, v63
	v_add_f16_e32 v52, v52, v107
	v_fmamk_f16 v107, v39, 0x2de8, v111
	v_mul_f16_sdwa v114, v40, v112 dst_sel:DWORD dst_unused:UNUSED_PAD src0_sel:WORD_1 src1_sel:DWORD
	v_add_f16_e32 v55, v110, v55
	v_fmamk_f16 v110, v40, 0x3964, v113
	v_mul_f16_e32 v115, 0xbbdd, v61
	v_add_f16_e32 v52, v107, v52
	v_fmamk_f16 v107, v44, 0x39e9, v114
	v_mul_f16_e32 v116, 0xbacd, v57
	v_add_f16_e32 v55, v110, v55
	v_fmamk_f16 v110, v43, 0x31e1, v115
	v_mul_f16_sdwa v117, v43, v48 dst_sel:DWORD dst_unused:UNUSED_PAD src0_sel:WORD_1 src1_sel:DWORD
	v_add_f16_e32 v52, v107, v52
	v_fmamk_f16 v107, v37, 0x3836, v116
	v_mul_f16_e32 v119, 0x3722, v64
	v_add_f16_e32 v55, v110, v55
	v_mul_f16_e32 v110, 0x3722, v59
	v_fmamk_f16 v118, v45, 0xbbdd, v117
	v_mov_b32_e32 v120, 0x3b29
	v_add_f16_sdwa v107, v31, v107 dst_sel:DWORD dst_unused:UNUSED_PAD src0_sel:WORD_1 src1_sel:DWORD
	v_mul_f16_e32 v122, 0x2de8, v62
	v_fmamk_f16 v121, v35, 0xbb29, v110
	v_add_f16_e32 v118, v118, v52
	v_fmamk_f16 v52, v46, 0xbb29, v119
	v_mul_f16_sdwa v123, v46, v120 dst_sel:DWORD dst_unused:UNUSED_PAD src0_sel:WORD_1 src1_sel:DWORD
	v_mul_f16_e32 v124, 0xb8d2, v58
	v_add_f16_e32 v107, v121, v107
	v_fmamk_f16 v121, v33, 0x3bf7, v122
	v_add_f16_e32 v52, v52, v55
	v_fmamk_f16 v55, v47, 0x3722, v123
	v_mul_f16_sdwa v125, v37, v56 dst_sel:DWORD dst_unused:UNUSED_PAD src0_sel:WORD_1 src1_sel:DWORD
	v_mul_f16_e32 v126, 0x3b76, v60
	v_add_f16_e32 v107, v121, v107
	;; [unrolled: 6-line block ×3, first 2 shown]
	v_fmamk_f16 v121, v38, 0x35c8, v126
	v_fma_f16 v125, v42, 0xbacd, -v125
	v_add_f16_e32 v118, v31, v118
	v_fmamk_f16 v128, v41, 0x3722, v120
	v_mul_f16_sdwa v129, v33, v49 dst_sel:DWORD dst_unused:UNUSED_PAD src0_sel:WORD_1 src1_sel:DWORD
	v_add_f16_e32 v107, v121, v107
	v_fmamk_f16 v121, v40, 0x31e1, v127
	v_mul_f16_e32 v130, 0x39e9, v61
	v_add_f16_e32 v125, v31, v125
	v_fma_f16 v120, v41, 0x3722, -v120
	v_fmac_f16_e32 v67, 0xba62, v37
	v_add_f16_e32 v118, v128, v118
	v_fmamk_f16 v128, v36, 0x2de8, v129
	v_mul_f16_sdwa v131, v32, v65 dst_sel:DWORD dst_unused:UNUSED_PAD src0_sel:WORD_1 src1_sel:DWORD
	v_add_f16_e32 v65, v121, v107
	v_fmamk_f16 v107, v43, 0xb964, v130
	v_mul_f16_e32 v121, 0xb461, v64
	v_fmac_f16_e32 v116, 0xb836, v37
	v_add_f16_e32 v120, v120, v125
	v_add_f16_sdwa v125, v31, v67 dst_sel:DWORD dst_unused:UNUSED_PAD src0_sel:WORD_1 src1_sel:DWORD
	v_fmac_f16_e32 v71, 0x3bb2, v35
	v_fma_f16 v103, v42, 0xb8d2, -v103
	v_add_f16_e32 v118, v128, v118
	v_fmamk_f16 v128, v34, 0xb8d2, v131
	v_mul_f16_sdwa v132, v38, v66 dst_sel:DWORD dst_unused:UNUSED_PAD src0_sel:WORD_1 src1_sel:DWORD
	v_add_f16_e32 v65, v107, v65
	v_fmamk_f16 v107, v46, 0x3bb2, v121
	v_add_f16_sdwa v116, v31, v116 dst_sel:DWORD dst_unused:UNUSED_PAD src0_sel:WORD_1 src1_sel:DWORD
	v_fmac_f16_e32 v110, 0x3b29, v35
	v_add_f16_e32 v71, v71, v125
	v_fmac_f16_e32 v74, 0xb5c8, v33
	v_add_f16_e32 v103, v31, v103
	v_fma_f16 v106, v41, 0xb461, -v106
	v_add_f16_e32 v118, v128, v118
	v_fmamk_f16 v128, v39, 0x3b76, v132
	v_add_f16_e32 v65, v107, v65
	v_mul_f16_sdwa v107, v40, v48 dst_sel:DWORD dst_unused:UNUSED_PAD src0_sel:WORD_1 src1_sel:DWORD
	v_add_f16_e32 v110, v110, v116
	v_fmac_f16_e32 v122, 0xbbf7, v33
	v_add_f16_e32 v71, v74, v71
	v_fmac_f16_e32 v104, 0xb836, v32
	v_add_f16_e32 v103, v106, v103
	v_fma_f16 v106, v36, 0x3b76, -v109
	v_add_f16_e32 v118, v128, v118
	v_fmamk_f16 v116, v44, 0xbbdd, v107
	v_mul_f16_sdwa v128, v43, v54 dst_sel:DWORD dst_unused:UNUSED_PAD src0_sel:WORD_1 src1_sel:DWORD
	v_add_f16_e32 v110, v122, v110
	v_fma_f16 v122, v36, 0x2de8, -v129
	v_add_f16_e32 v104, v104, v71
	v_fmac_f16_e32 v105, 0x3bf7, v38
	v_add_f16_e32 v103, v106, v103
	v_fma_f16 v106, v34, 0xbacd, -v108
	v_add_f16_e32 v116, v116, v118
	v_fmamk_f16 v118, v45, 0x39e9, v128
	v_add_f16_e32 v120, v122, v120
	v_fma_f16 v122, v34, 0xb8d2, -v131
	v_add_f16_e32 v104, v105, v104
	v_fmac_f16_e32 v113, 0xb964, v40
	v_mul_f16_e32 v108, 0xb461, v57
	v_add_f16_e32 v103, v106, v103
	v_fma_f16 v109, v39, 0x2de8, -v111
	v_fmac_f16_e32 v124, 0x3a62, v32
	v_add_f16_e32 v116, v118, v116
	v_mul_f16_sdwa v118, v46, v50 dst_sel:DWORD dst_unused:UNUSED_PAD src0_sel:WORD_1 src1_sel:DWORD
	v_add_f16_e32 v120, v122, v120
	v_fma_f16 v122, v39, 0x3b76, -v132
	v_add_f16_e32 v104, v113, v104
	v_fmac_f16_e32 v115, 0xb1e1, v43
	v_mul_f16_e32 v106, 0xb461, v42
	v_add_f16_e32 v78, v78, v108
	v_mul_f16_e32 v108, 0xbacd, v59
	v_add_f16_e32 v103, v109, v103
	v_fma_f16 v109, v44, 0x39e9, -v114
	v_add_f16_e32 v110, v124, v110
	v_fmamk_f16 v124, v47, 0xb461, v118
	v_add_f16_e32 v120, v122, v120
	v_fma_f16 v107, v44, 0xbbdd, -v107
	v_add_f16_e32 v104, v115, v104
	v_add_f16_sdwa v78, v31, v78 dst_sel:DWORD dst_unused:UNUSED_PAD src0_sel:WORD_1 src1_sel:DWORD
	v_add_f16_e32 v99, v99, v108
	v_mul_f16_e32 v108, 0xbacd, v41
	v_add_f16_e32 v103, v109, v103
	v_mul_f16_e32 v109, 0x39e9, v62
	v_fmac_f16_e32 v119, 0x3b29, v46
	v_fma_f16 v114, v45, 0xbbdd, -v117
	v_sub_f16_e32 v83, v106, v83
	v_add_f16_e32 v67, v124, v116
	v_add_f16_e32 v107, v107, v120
	v_fma_f16 v116, v45, 0x39e9, -v128
	v_add_f16_e32 v99, v99, v78
	v_add_f16_e32 v101, v101, v109
	;; [unrolled: 1-line block ×3, first 2 shown]
	v_mul_f16_e32 v104, 0x39e9, v36
	v_add_f16_e32 v103, v114, v103
	v_mul_f16_e32 v114, 0x3722, v58
	v_sub_f16_e32 v82, v108, v82
	v_add_f16_e32 v83, v31, v83
	v_add_f16_e32 v74, v116, v107
	v_fma_f16 v107, v47, 0xb461, -v118
	v_add_f16_e32 v99, v101, v99
	v_add_f16_e32 v97, v97, v114
	v_mul_f16_e32 v114, 0xbbdd, v60
	v_mul_f16_e32 v108, 0x3722, v34
	v_add_f16_e32 v82, v82, v83
	v_sub_f16_e32 v79, v104, v79
	v_fmac_f16_e32 v126, 0xb5c8, v38
	v_add_f16_e32 v74, v107, v74
	v_mul_f16_e32 v107, 0x2de8, v57
	v_add_f16_e32 v97, v97, v99
	v_add_f16_e32 v98, v98, v114
	v_mul_f16_e32 v83, 0x2de8, v63
	v_mul_f16_e32 v104, 0xbbdd, v39
	v_add_f16_e32 v79, v79, v82
	v_sub_f16_e32 v80, v108, v80
	v_add_f16_e32 v110, v126, v110
	v_fmac_f16_e32 v127, 0xb1e1, v40
	v_mul_f16_e32 v111, 0xbbdd, v59
	v_add_f16_e32 v97, v98, v97
	v_add_f16_e32 v83, v100, v83
	v_mul_f16_e32 v82, 0x3b76, v61
	v_mul_f16_e32 v108, 0x2de8, v44
	v_add_f16_e32 v79, v80, v79
	v_add_f16_e32 v91, v91, v107
	v_sub_f16_e32 v81, v104, v81
	v_add_f16_e32 v110, v127, v110
	v_fmac_f16_e32 v130, 0x3964, v43
	v_mul_f16_e32 v109, 0xb461, v62
	v_add_f16_e32 v83, v83, v97
	v_add_f16_e32 v82, v102, v82
	v_mul_f16_e32 v80, 0x3b76, v45
	v_add_f16_e32 v92, v92, v111
	v_add_f16_sdwa v91, v31, v91 dst_sel:DWORD dst_unused:UNUSED_PAD src0_sel:WORD_1 src1_sel:DWORD
	v_add_f16_e32 v79, v81, v79
	v_sub_f16_e32 v84, v108, v84
	v_add_f16_e32 v110, v130, v110
	v_fmac_f16_e32 v121, 0xbbb2, v46
	v_mul_f16_e32 v105, 0x2de8, v42
	v_mul_f16_e32 v106, 0x3b76, v58
	;; [unrolled: 1-line block ×3, first 2 shown]
	v_add_f16_e32 v91, v92, v91
	v_add_f16_e32 v92, v93, v109
	v_add_f16_e32 v82, v82, v83
	v_add_f16_e32 v83, v84, v79
	v_sub_f16_e32 v80, v80, v86
	v_add_f16_e32 v71, v121, v110
	v_mul_f16_e32 v110, 0xbbdd, v41
	v_mul_f16_e32 v114, 0x3722, v60
	v_add_f16_e32 v81, v96, v81
	v_add_f16_e32 v84, v92, v91
	;; [unrolled: 1-line block ×3, first 2 shown]
	v_sub_f16_e32 v75, v105, v75
	v_add_f16_e32 v80, v80, v83
	v_mul_f16_e32 v83, 0xbb29, v37
	v_mul_f16_e32 v113, 0xb461, v36
	v_add_f16_e32 v81, v81, v82
	v_add_f16_e32 v82, v86, v84
	;; [unrolled: 1-line block ×4, first 2 shown]
	v_sub_f16_e32 v72, v110, v72
	v_fmamk_f16 v90, v57, 0x3722, v83
	v_mul_f16_e32 v91, 0xba62, v35
	v_mul_f16_e32 v101, 0x3b76, v34
	v_add_f16_e32 v82, v84, v82
	v_add_f16_e32 v72, v72, v75
	v_sub_f16_e32 v70, v113, v70
	v_add_f16_sdwa v75, v31, v90 dst_sel:DWORD dst_unused:UNUSED_PAD src0_sel:WORD_1 src1_sel:DWORD
	v_fmamk_f16 v84, v59, 0xb8d2, v91
	v_mul_f16_e32 v90, 0x31e1, v33
	v_mul_f16_e32 v99, 0x3722, v39
	v_add_f16_e32 v70, v70, v72
	v_sub_f16_e32 v69, v101, v69
	v_add_f16_e32 v72, v84, v75
	v_fmamk_f16 v75, v62, 0xbbdd, v90
	v_mul_f16_e32 v84, 0x3bb2, v32
	v_mul_f16_e32 v98, 0xbacd, v44
	;; [unrolled: 1-line block ×3, first 2 shown]
	v_add_f16_e32 v69, v69, v70
	v_sub_f16_e32 v70, v99, v73
	v_add_f16_e32 v72, v75, v72
	v_fmamk_f16 v73, v58, 0xb461, v84
	v_mul_f16_e32 v75, 0x3964, v38
	v_mul_f16_e32 v97, 0xb8d2, v45
	;; [unrolled: 1-line block ×3, first 2 shown]
	v_add_f16_e32 v89, v89, v100
	v_add_f16_e32 v69, v70, v69
	v_sub_f16_e32 v70, v98, v76
	v_add_f16_e32 v72, v73, v72
	v_fmamk_f16 v73, v60, 0x39e9, v75
	v_mul_f16_e32 v76, 0xb5c8, v40
	v_mul_f16_e32 v107, 0x39e9, v47
	v_mul_f16_e32 v111, 0xb8d2, v47
	v_add_f16_e32 v82, v89, v82
	v_add_f16_e32 v88, v88, v102
	;; [unrolled: 1-line block ×3, first 2 shown]
	v_sub_f16_e32 v70, v97, v77
	v_add_f16_e32 v72, v73, v72
	v_fmamk_f16 v73, v63, 0x3b76, v76
	v_mul_f16_e32 v77, 0xbbf7, v43
	v_sub_f16_e32 v86, v111, v95
	v_add_f16_e32 v82, v88, v82
	v_add_f16_e32 v69, v70, v69
	v_sub_f16_e32 v70, v107, v85
	v_add_f16_e32 v72, v73, v72
	v_fmamk_f16 v73, v61, 0x2de8, v77
	v_mul_f16_sdwa v85, v37, v51 dst_sel:DWORD dst_unused:UNUSED_PAD src0_sel:WORD_1 src1_sel:DWORD
	v_mul_f16_e32 v88, 0xb964, v37
	v_add_f16_e32 v80, v86, v80
	v_add_f16_e32 v69, v70, v69
	;; [unrolled: 1-line block ×3, first 2 shown]
	v_fma_f16 v72, v42, 0x3722, -v85
	v_mul_f16_sdwa v73, v35, v68 dst_sel:DWORD dst_unused:UNUSED_PAD src0_sel:WORD_1 src1_sel:DWORD
	v_mov_b32_e32 v86, 0x31e1
	v_fmamk_f16 v93, v57, 0x39e9, v88
	v_mul_f16_e32 v94, 0xbbf7, v35
	v_add_f16_e32 v72, v31, v72
	v_fma_f16 v89, v41, 0xb8d2, -v73
	v_mul_f16_sdwa v86, v33, v86 dst_sel:DWORD dst_unused:UNUSED_PAD src0_sel:WORD_1 src1_sel:DWORD
	v_add_f16_sdwa v93, v31, v93 dst_sel:DWORD dst_unused:UNUSED_PAD src0_sel:WORD_1 src1_sel:DWORD
	v_fmamk_f16 v95, v59, 0x2de8, v94
	v_mul_f16_e32 v96, 0xba62, v33
	v_add_f16_e32 v72, v89, v72
	v_fma_f16 v89, v36, 0xbbdd, -v86
	v_mul_f16_sdwa v53, v32, v53 dst_sel:DWORD dst_unused:UNUSED_PAD src0_sel:WORD_1 src1_sel:DWORD
	v_add_f16_e32 v93, v95, v93
	v_fmamk_f16 v95, v62, 0xb8d2, v96
	v_mul_f16_e32 v97, 0xb1e1, v32
	v_add_f16_e32 v72, v89, v72
	v_fma_f16 v89, v34, 0xb461, -v53
	v_mul_f16_sdwa v54, v38, v54 dst_sel:DWORD dst_unused:UNUSED_PAD src0_sel:WORD_1 src1_sel:DWORD
	v_add_f16_e32 v93, v95, v93
	v_fmamk_f16 v95, v58, 0xbbdd, v97
	v_mul_f16_e32 v99, 0x3836, v38
	v_fma_f16 v115, v47, 0x3722, -v123
	v_add_f16_e32 v72, v89, v72
	v_fma_f16 v89, v39, 0x39e9, -v54
	v_mul_f16_sdwa v98, v40, v66 dst_sel:DWORD dst_unused:UNUSED_PAD src0_sel:WORD_1 src1_sel:DWORD
	v_add_f16_e32 v93, v95, v93
	v_fmamk_f16 v95, v60, 0xbacd, v99
	v_mul_f16_e32 v101, 0x3bb2, v40
	v_fma_f16 v83, v57, 0x3722, -v83
	v_pk_add_f16 v23, v31, v23
	v_mul_f16_e32 v104, 0x39e9, v64
	v_add_f16_e32 v79, v115, v103
	v_add_f16_e32 v72, v89, v72
	v_fma_f16 v89, v44, 0x3b76, -v98
	v_mul_f16_sdwa v100, v43, v49 dst_sel:DWORD dst_unused:UNUSED_PAD src0_sel:WORD_1 src1_sel:DWORD
	v_add_f16_e32 v93, v95, v93
	v_fmamk_f16 v95, v63, 0xb461, v101
	v_mul_f16_e32 v103, 0x3b29, v43
	v_mul_f16_sdwa v66, v37, v66 dst_sel:DWORD dst_unused:UNUSED_PAD src0_sel:WORD_1 src1_sel:DWORD
	v_add_f16_sdwa v83, v31, v83 dst_sel:DWORD dst_unused:UNUSED_PAD src0_sel:WORD_1 src1_sel:DWORD
	v_fma_f16 v91, v59, 0xb8d2, -v91
	v_pk_add_f16 v23, v23, v24
	v_add_f16_e32 v87, v87, v104
	v_add_f16_e32 v72, v89, v72
	v_fma_f16 v89, v45, 0x2de8, -v100
	v_add_f16_e32 v93, v95, v93
	v_fmamk_f16 v95, v61, 0x3722, v103
	v_mul_f16_e32 v104, 0x35c8, v46
	v_fma_f16 v105, v42, 0x3b76, -v66
	v_mul_f16_sdwa v106, v35, v112 dst_sel:DWORD dst_unused:UNUSED_PAD src0_sel:WORD_1 src1_sel:DWORD
	v_add_f16_e32 v24, v91, v83
	v_fma_f16 v83, v62, 0xbbdd, -v90
	v_pk_add_f16 v21, v23, v21
	v_add_f16_e32 v72, v89, v72
	v_mul_f16_sdwa v89, v46, v56 dst_sel:DWORD dst_unused:UNUSED_PAD src0_sel:WORD_1 src1_sel:DWORD
	v_add_f16_e32 v93, v95, v93
	v_fmamk_f16 v95, v64, 0x3b76, v104
	v_add_f16_e32 v105, v31, v105
	v_fma_f16 v108, v41, 0x39e9, -v106
	v_add_f16_e32 v23, v83, v24
	v_fma_f16 v24, v58, 0xb461, -v84
	v_fmac_f16_e32 v85, 0x3722, v42
	v_pk_add_f16 v21, v21, v22
	v_fma_f16 v22, v57, 0x39e9, -v88
	v_fma_f16 v107, v47, 0xbacd, -v89
	v_add_f16_e32 v93, v95, v93
	v_add_f16_e32 v95, v108, v105
	v_pk_mul_f16 v105, 0x3b7639e9, v42
	v_add_f16_e32 v23, v24, v23
	v_fma_f16 v24, v60, 0x39e9, -v75
	v_add_f16_e32 v57, v31, v85
	v_fmac_f16_e32 v73, 0xb8d2, v41
	v_add_f16_sdwa v22, v31, v22 dst_sel:DWORD dst_unused:UNUSED_PAD src0_sel:WORD_1 src1_sel:DWORD
	v_fma_f16 v59, v59, 0x2de8, -v94
	v_add_f16_e32 v72, v107, v72
	v_pk_mul_f16 v107, 0x39e92de8, v41
	v_pk_add_f16 v17, v21, v17
	v_add_f16_e32 v21, v24, v23
	v_add_f16_e32 v23, v73, v57
	v_fmac_f16_e32 v86, 0xbbdd, v36
	v_add_f16_e32 v22, v59, v22
	v_fma_f16 v24, v62, 0xb8d2, -v96
	v_pk_fma_f16 v59, 0xb964b5c8, v37, v105 op_sel:[0,0,1] op_sel_hi:[1,1,0]
	v_pk_mul_f16 v108, 0x3722b8d2, v36
	v_add_f16_e32 v23, v86, v23
	v_fmac_f16_e32 v53, 0xb461, v34
	v_add_f16_e32 v22, v24, v22
	v_fma_f16 v24, v58, 0xbbdd, -v97
	v_pk_add_f16 v58, v31, v59 op_sel:[1,0] op_sel_hi:[0,1]
	v_pk_fma_f16 v62, 0xbbf7b964, v35, v107 op_sel:[0,0,1] op_sel_hi:[1,1,0]
	v_pk_mul_f16 v109, 0x2de8bbdd, v34
	v_add_f16_e32 v23, v53, v23
	v_fmac_f16_e32 v54, 0x39e9, v39
	v_add_f16_e32 v22, v24, v22
	v_fma_f16 v24, v60, 0xbacd, -v99
	v_pk_add_f16 v53, v62, v58
	v_pk_fma_f16 v58, 0xba62bb29, v33, v108 op_sel:[0,0,1] op_sel_hi:[1,1,0]
	v_pk_mul_f16 v110, 0xb461bacd, v39
	v_add_f16_e32 v23, v54, v23
	v_add_f16_e32 v22, v24, v22
	v_fma_f16 v24, v63, 0xb461, -v101
	v_pk_add_f16 v53, v58, v53
	v_pk_fma_f16 v54, 0xb1e1bbf7, v32, v109 op_sel:[0,0,1] op_sel_hi:[1,1,0]
	v_pk_mul_f16 v111, 0xb8d2b461, v44
	v_pk_fma_f16 v60, 0x3836bbb2, v38, v110 op_sel:[0,0,1] op_sel_hi:[1,1,0]
	v_add_f16_e32 v22, v24, v22
	v_fma_f16 v24, v61, 0x3722, -v103
	v_pk_add_f16 v53, v54, v53
	v_fma_f16 v57, v63, 0x3b76, -v76
	v_pk_fma_f16 v63, 0x3bb2ba62, v40, v111 op_sel:[0,0,1] op_sel_hi:[1,1,0]
	v_pk_add_f16 v17, v17, v18
	v_add_f16_e32 v22, v24, v22
	v_fma_f16 v24, v64, 0x3b76, -v104
	v_pk_add_f16 v53, v60, v53
	v_mul_f16_e32 v92, 0xbacd, v64
	v_pk_add_f16 v15, v17, v15
	v_pk_fma_f16 v64, 0xbbf7b964, v35, v107 op_sel:[0,0,1] op_sel_hi:[1,1,0] neg_lo:[0,1,0] neg_hi:[0,1,0]
	v_add_f16_e32 v22, v24, v22
	v_pk_add_f16 v24, v63, v53
	v_pk_fma_f16 v53, 0xb964b5c8, v37, v105 op_sel:[0,0,1] op_sel_hi:[1,1,0] neg_lo:[0,1,0] neg_hi:[0,1,0]
	v_pk_add_f16 v15, v15, v16
	v_fmamk_f16 v102, v46, 0xb836, v92
	v_mul_f16_sdwa v51, v33, v51 dst_sel:DWORD dst_unused:UNUSED_PAD src0_sel:WORD_1 src1_sel:DWORD
	v_pk_fma_f16 v73, 0xba62bb29, v33, v108 op_sel:[0,0,1] op_sel_hi:[1,1,0] neg_lo:[0,1,0] neg_hi:[0,1,0]
	v_add_f16_sdwa v76, v31, v53 dst_sel:DWORD dst_unused:UNUSED_PAD src0_sel:WORD_1 src1_sel:DWORD
	v_bfi_b32 v17, 0xffff, v59, v53
	v_fmac_f16_e32 v66, 0x3b76, v42
	v_pk_add_f16 v15, v15, v19
	v_add_f16_e32 v70, v102, v70
	v_add_f16_e32 v76, v64, v76
	v_pk_add_f16 v16, v31, v17 op_sel:[1,0] op_sel_hi:[0,1]
	v_bfi_b32 v17, 0xffff, v62, v64
	v_fma_f16 v102, v36, 0x3722, -v51
	v_mul_f16_sdwa v49, v32, v49 dst_sel:DWORD dst_unused:UNUSED_PAD src0_sel:WORD_1 src1_sel:DWORD
	v_pk_fma_f16 v75, 0xb1e1bbf7, v32, v109 op_sel:[0,0,1] op_sel_hi:[1,1,0] neg_lo:[0,1,0] neg_hi:[0,1,0]
	v_add_f16_e32 v53, v73, v76
	v_add_f16_e32 v59, v31, v66
	v_fmac_f16_e32 v106, 0x39e9, v41
	v_pk_add_f16 v16, v17, v16
	v_bfi_b32 v17, 0xffff, v58, v73
	v_pk_add_f16 v15, v15, v20
	v_add_f16_e32 v95, v102, v95
	v_fma_f16 v102, v34, 0x2de8, -v49
	v_mul_f16_sdwa v50, v38, v50 dst_sel:DWORD dst_unused:UNUSED_PAD src0_sel:WORD_1 src1_sel:DWORD
	v_add_f16_e32 v21, v57, v21
	v_fma_f16 v57, v61, 0x2de8, -v77
	v_pk_fma_f16 v77, 0x3836bbb2, v38, v110 op_sel:[0,0,1] op_sel_hi:[1,1,0] neg_lo:[0,1,0] neg_hi:[0,1,0]
	v_add_f16_e32 v53, v75, v53
	v_add_f16_e32 v59, v106, v59
	v_fmac_f16_e32 v51, 0x3722, v36
	v_pk_add_f16 v16, v17, v16
	v_bfi_b32 v17, 0xffff, v54, v75
	v_pk_add_f16 v13, v15, v13
	v_add_f16_e32 v95, v102, v95
	v_fma_f16 v102, v39, 0xb461, -v50
	v_mul_f16_sdwa v68, v40, v68 dst_sel:DWORD dst_unused:UNUSED_PAD src0_sel:WORD_1 src1_sel:DWORD
	v_pk_mul_f16 v112, 0xbacd3722, v45
	v_pk_fma_f16 v84, 0x3bb2ba62, v40, v111 op_sel:[0,0,1] op_sel_hi:[1,1,0] neg_lo:[0,1,0] neg_hi:[0,1,0]
	v_add_f16_e32 v19, v77, v53
	v_add_f16_e32 v51, v51, v59
	v_fmac_f16_e32 v49, 0x2de8, v34
	v_pk_add_f16 v15, v17, v16
	v_bfi_b32 v16, 0xffff, v60, v77
	v_pk_add_f16 v13, v13, v14
	v_pk_mul_f16 v113, 0xbbdd3b76, v47
	v_add_f16_e32 v95, v102, v95
	v_fma_f16 v102, v44, 0xb8d2, -v68
	v_mul_f16_sdwa v56, v43, v56 dst_sel:DWORD dst_unused:UNUSED_PAD src0_sel:WORD_1 src1_sel:DWORD
	v_pk_fma_f16 v61, 0x3b29b836, v43, v112 op_sel:[0,0,1] op_sel_hi:[1,1,0]
	v_pk_fma_f16 v18, 0x3b29b836, v43, v112 op_sel:[0,0,1] op_sel_hi:[1,1,0] neg_lo:[0,1,0] neg_hi:[0,1,0]
	v_add_f16_e32 v19, v84, v19
	v_add_f16_e32 v20, v49, v51
	v_fmac_f16_e32 v50, 0xb461, v39
	v_pk_add_f16 v14, v16, v15
	v_bfi_b32 v15, 0xffff, v63, v84
	v_pk_add_f16 v11, v13, v11
	v_add_f16_e32 v95, v102, v95
	v_fma_f16 v102, v45, 0xbacd, -v56
	v_mul_f16_sdwa v48, v46, v48 dst_sel:DWORD dst_unused:UNUSED_PAD src0_sel:WORD_1 src1_sel:DWORD
	v_pk_fma_f16 v85, 0x35c8b1e1, v46, v113 op_sel:[0,0,1] op_sel_hi:[1,1,0] neg_lo:[0,1,0] neg_hi:[0,1,0]
	v_add_f16_e32 v17, v18, v19
	v_add_f16_e32 v19, v50, v20
	v_fmac_f16_e32 v68, 0xb8d2, v44
	v_pk_add_f16 v13, v15, v14
	v_bfi_b32 v14, 0xffff, v61, v18
	v_pk_fma_f16 v15, 0x35c8b1e1, v46, v113 op_sel:[0,0,1] op_sel_hi:[1,1,0]
	v_pk_add_f16 v11, v11, v12
	v_add_f16_e32 v90, v102, v95
	v_fma_f16 v91, v47, 0xbbdd, -v48
	v_add_f16_e32 v16, v85, v17
	v_add_f16_e32 v17, v68, v19
	v_fmac_f16_e32 v56, 0xbacd, v45
	v_pk_add_f16 v12, v14, v13
	v_bfi_b32 v13, 0xffff, v15, v85
	v_mul_u32_u24_e32 v14, 0x44, v3
	v_pk_add_f16 v9, v11, v9
	v_pk_mul_f16 v11, 0xbbdd, v42 op_sel_hi:[0,1]
	v_add_f16_e32 v83, v91, v90
	v_add_f16_e32 v17, v56, v17
	v_fmac_f16_e32 v48, 0xbbdd, v47
	v_pk_add_f16 v12, v13, v12
	v_add3_u32 v13, 0, v14, v26
	v_pk_add_f16 v9, v9, v10
	v_pk_fma_f16 v10, 0xb1e1, v37, v11 op_sel:[0,0,1] op_sel_hi:[0,1,0] neg_lo:[0,1,0] neg_hi:[0,1,0]
	v_pk_mul_f16 v14, 0x3b76, v41 op_sel_hi:[0,1]
	v_pk_fma_f16 v11, 0xb1e1, v37, v11 op_sel:[0,0,1] op_sel_hi:[0,1,0]
	v_add_f16_e32 v15, v48, v17
	v_alignbit_b32 v17, v93, v12, 16
	v_pack_b32_f16 v12, v83, v12
	v_pk_add_f16 v10, v31, v10 op_sel:[1,0] op_sel_hi:[0,1]
	v_pk_fma_f16 v18, 0x35c8, v35, v14 op_sel:[0,0,1] op_sel_hi:[0,1,0] neg_lo:[0,1,0] neg_hi:[0,1,0]
	v_pk_mul_f16 v19, 0xbacd, v36 op_sel_hi:[0,1]
	v_pk_add_f16 v11, v31, v11 op_sel:[1,0] op_sel_hi:[0,1]
	v_pk_fma_f16 v14, 0x35c8, v35, v14 op_sel:[0,0,1] op_sel_hi:[0,1,0]
	ds_write2_b32 v13, v12, v17 offset0:1 offset1:2
	v_pk_add_f16 v10, v18, v10
	v_pk_fma_f16 v12, 0xb836, v33, v19 op_sel:[0,0,1] op_sel_hi:[0,1,0] neg_lo:[0,1,0] neg_hi:[0,1,0]
	v_pk_mul_f16 v17, 0x39e9, v34 op_sel_hi:[0,1]
	v_pk_add_f16 v11, v14, v11
	v_pk_fma_f16 v14, 0xb836, v33, v19 op_sel:[0,0,1] op_sel_hi:[0,1,0]
	v_add_f16_e32 v82, v87, v82
	v_pk_add_f16 v10, v12, v10
	v_pk_fma_f16 v12, 0x3964, v32, v17 op_sel:[0,0,1] op_sel_hi:[0,1,0] neg_lo:[0,1,0] neg_hi:[0,1,0]
	v_pk_mul_f16 v19, 0xb8d2, v39 op_sel_hi:[0,1]
	v_pk_add_f16 v11, v14, v11
	v_pk_fma_f16 v14, 0x3964, v32, v17 op_sel:[0,0,1] op_sel_hi:[0,1,0]
	v_pack_b32_f16 v18, v69, v82
	v_pack_b32_f16 v17, v72, v70
	v_pk_add_f16 v10, v12, v10
	v_pk_fma_f16 v12, 0xba62, v38, v19 op_sel:[0,0,1] op_sel_hi:[0,1,0] neg_lo:[0,1,0] neg_hi:[0,1,0]
	v_pk_mul_f16 v20, 0x3722, v44 op_sel_hi:[0,1]
	v_pk_add_f16 v11, v14, v11
	v_pk_fma_f16 v14, 0xba62, v38, v19 op_sel:[0,0,1] op_sel_hi:[0,1,0]
	v_mul_f16_e32 v87, 0xb836, v46
	ds_write2_b32 v13, v17, v18 offset0:3 offset1:4
	v_pk_add_f16 v10, v12, v10
	v_pk_fma_f16 v12, 0x3b29, v40, v20 op_sel:[0,0,1] op_sel_hi:[0,1,0] neg_lo:[0,1,0] neg_hi:[0,1,0]
	v_pk_mul_f16 v17, 0xb461, v45 op_sel_hi:[0,1]
	v_pk_add_f16 v11, v14, v11
	v_pk_fma_f16 v14, 0x3b29, v40, v20 op_sel:[0,0,1] op_sel_hi:[0,1,0]
	v_pk_mul_f16 v95, 0x35c8b1e1, v46
	v_fmac_f16_e32 v98, 0x3b76, v44
	v_pk_add_f16 v10, v12, v10
	v_pk_fma_f16 v12, 0xbbb2, v43, v17 op_sel:[0,0,1] op_sel_hi:[0,1,0] neg_lo:[0,1,0] neg_hi:[0,1,0]
	v_pk_mul_f16 v19, 0x2de8, v47 op_sel_hi:[0,1]
	v_pk_add_f16 v11, v14, v11
	v_pk_fma_f16 v14, 0xbbb2, v43, v17 op_sel:[0,0,1] op_sel_hi:[0,1,0]
	v_bfi_b32 v20, 0xffff, v87, v24
	v_add_f16_e32 v23, v98, v23
	v_fmac_f16_e32 v100, 0x2de8, v45
	v_pk_add_f16 v10, v12, v10
	v_pk_fma_f16 v12, 0x3bf7, v46, v19 op_sel:[0,0,1] op_sel_hi:[0,1,0] neg_lo:[0,1,0] neg_hi:[0,1,0]
	v_pk_add_f16 v11, v14, v11
	v_pk_fma_f16 v14, 0x3bf7, v46, v19 op_sel:[0,0,1] op_sel_hi:[0,1,0]
	v_pk_add_f16 v19, v92, v20 neg_lo:[0,1] neg_hi:[0,1]
	v_pk_add_f16 v20, v61, v24
	v_pack_b32_f16 v24, v57, v113
	v_bfi_b32 v21, 0xffff, v21, v95
	v_add_f16_e32 v23, v100, v23
	v_fmac_f16_e32 v89, 0xbacd, v47
	v_pack_b32_f16 v18, v80, v81
	v_pack_b32_f16 v17, v79, v78
	v_pk_add_f16 v10, v12, v10
	v_pk_add_f16 v11, v14, v11
	v_bfi_b32 v12, 0xffff, v19, v20
	v_pk_add_f16 v14, v24, v21
	v_pack_b32_f16 v31, v74, v71
	v_add_f16_e32 v23, v89, v23
	ds_write2_b32 v13, v18, v17 offset0:5 offset1:6
	ds_write2_b32 v13, v9, v31 offset1:7
	v_alignbit_b32 v9, v10, v11, 16
	v_alignbit_b32 v10, v11, v10, 16
	v_pk_add_f16 v11, v12, v14
	v_pack_b32_f16 v12, v55, v52
	v_pack_b32_f16 v14, v67, v65
	v_perm_b32 v17, v29, v8, 0x5040100
	v_perm_b32 v18, v28, v7, 0x5040100
	v_alignbit_b32 v19, v22, v11, 16
	v_pack_b32_f16 v11, v23, v11
	v_pack_b32_f16 v15, v15, v16
	ds_write2_b32 v13, v10, v9 offset0:8 offset1:9
	ds_write2_b32 v13, v14, v12 offset0:10 offset1:11
	ds_write2_b32 v13, v18, v17 offset0:12 offset1:13
	ds_write2_b32 v13, v11, v19 offset0:14 offset1:15
	ds_write_b32 v13, v15 offset:64
.LBB0_22:
	s_or_b32 exec_lo, exec_lo, s4
	s_waitcnt lgkmcnt(0)
	s_barrier
	buffer_gl0_inv
	ds_read2_b32 v[13:14], v4 offset0:170 offset1:221
	ds_read2_b32 v[9:10], v4 offset0:34 offset1:68
	;; [unrolled: 1-line block ×5, first 2 shown]
	ds_read_b32 v19, v25
	ds_read_b32 v20, v4 offset:1564
	s_and_saveexec_b32 s1, s0
	s_cbranch_execz .LBB0_24
; %bb.23:
	v_add_nc_u32_e32 v7, 0x300, v4
	ds_read2_b32 v[7:8], v7 offset0:12 offset1:233
	s_waitcnt lgkmcnt(0)
	v_lshrrev_b32_e32 v28, 16, v7
	v_lshrrev_b32_e32 v29, 16, v8
.LBB0_24:
	s_or_b32 exec_lo, exec_lo, s1
	v_subrev_nc_u32_e32 v21, 17, v3
	v_add_nc_u16 v32, v3, 0x88
	v_add_nc_u16 v31, v3, 0x66
	;; [unrolled: 1-line block ×4, first 2 shown]
	v_cndmask_b32_e64 v22, v21, v3, s0
	v_add_nc_u16 v21, v3, 0xaa
	v_and_b32_e32 v35, 0xff, v32
	v_and_b32_e32 v34, 0xff, v31
	;; [unrolled: 1-line block ×5, first 2 shown]
	v_mul_lo_u16 v35, 0xf1, v35
	v_mul_lo_u16 v34, 0xf1, v34
	;; [unrolled: 1-line block ×5, first 2 shown]
	v_lshrrev_b16 v35, 12, v35
	v_lshrrev_b16 v34, 12, v34
	;; [unrolled: 1-line block ×5, first 2 shown]
	v_mul_lo_u16 v40, v35, 17
	v_mov_b32_e32 v23, 0
	v_mul_lo_u16 v41, v34, 17
	v_mul_lo_u16 v42, v37, 17
	;; [unrolled: 1-line block ×4, first 2 shown]
	v_sub_nc_u16 v32, v32, v40
	v_lshlrev_b64 v[23:24], 2, v[22:23]
	v_sub_nc_u16 v31, v31, v41
	v_sub_nc_u16 v38, v21, v38
	v_mov_b32_e32 v21, 2
	v_sub_nc_u16 v30, v30, v42
	v_sub_nc_u16 v27, v27, v39
	v_add_co_u32 v23, s1, s12, v23
	v_lshlrev_b32_sdwa v38, v21, v38 dst_sel:DWORD dst_unused:UNUSED_PAD src0_sel:DWORD src1_sel:BYTE_0
	v_lshlrev_b32_sdwa v32, v21, v32 dst_sel:DWORD dst_unused:UNUSED_PAD src0_sel:DWORD src1_sel:BYTE_0
	;; [unrolled: 1-line block ×5, first 2 shown]
	v_add_co_ci_u32_e64 v24, s1, s13, v24, s1
	s_clause 0x5
	global_load_dword v39, v38, s[12:13]
	global_load_dword v40, v32, s[12:13]
	;; [unrolled: 1-line block ×5, first 2 shown]
	global_load_dword v23, v[23:24], off
	v_cmp_lt_u32_e64 s1, 16, v3
	v_lshlrev_b32_e32 v22, 2, v22
	v_and_b32_e32 v34, 0xffff, v34
	v_and_b32_e32 v35, 0xffff, v35
	;; [unrolled: 1-line block ×3, first 2 shown]
	v_cndmask_b32_e64 v24, 0, 0x88, s1
	s_waitcnt vmcnt(0) lgkmcnt(0)
	v_mad_u32_u24 v34, 0x88, v34, 0
	v_mad_u32_u24 v35, 0x88, v35, 0
	;; [unrolled: 1-line block ×3, first 2 shown]
	v_add_nc_u32_e32 v24, 0, v24
	s_barrier
	buffer_gl0_inv
	v_add3_u32 v22, v24, v22, v26
	v_and_b32_e32 v24, 0xffff, v33
	v_and_b32_e32 v33, 0xffff, v37
	v_mad_u32_u24 v24, 0x88, v24, 0
	v_mad_u32_u24 v33, 0x88, v33, 0
	v_add3_u32 v24, v24, v27, v26
	v_add3_u32 v27, v33, v30, v26
	;; [unrolled: 1-line block ×5, first 2 shown]
	v_pk_mul_f16 v33, v39, v20 op_sel:[0,1]
	v_pk_mul_f16 v34, v40, v18 op_sel:[0,1]
	;; [unrolled: 1-line block ×6, first 2 shown]
	v_pk_fma_f16 v44, v39, v20, v33 op_sel:[0,0,1] op_sel_hi:[1,1,0] neg_lo:[0,0,1] neg_hi:[0,0,1]
	v_pk_fma_f16 v20, v39, v20, v33 op_sel:[0,0,1] op_sel_hi:[1,0,0]
	v_pk_fma_f16 v33, v40, v18, v34 op_sel:[0,0,1] op_sel_hi:[1,1,0] neg_lo:[0,0,1] neg_hi:[0,0,1]
	v_pk_fma_f16 v18, v40, v18, v34 op_sel:[0,0,1] op_sel_hi:[1,0,0]
	;; [unrolled: 2-line block ×6, first 2 shown]
	v_bfi_b32 v14, 0xffff, v39, v14
	v_bfi_b32 v17, 0xffff, v34, v17
	;; [unrolled: 1-line block ×6, first 2 shown]
	v_pk_add_f16 v14, v19, v14 neg_lo:[0,1] neg_hi:[0,1]
	v_pk_add_f16 v16, v10, v16 neg_lo:[0,1] neg_hi:[0,1]
	;; [unrolled: 1-line block ×6, first 2 shown]
	v_pk_fma_f16 v19, v19, 2.0, v14 op_sel_hi:[1,0,1] neg_lo:[0,0,1] neg_hi:[0,0,1]
	v_pk_fma_f16 v10, v10, 2.0, v16 op_sel_hi:[1,0,1] neg_lo:[0,0,1] neg_hi:[0,0,1]
	;; [unrolled: 1-line block ×6, first 2 shown]
	ds_write2_b32 v22, v19, v14 offset1:17
	ds_write2_b32 v24, v9, v15 offset1:17
	;; [unrolled: 1-line block ×6, first 2 shown]
	s_and_saveexec_b32 s1, s0
	s_cbranch_execz .LBB0_26
; %bb.25:
	v_add_nc_u16 v9, v3, 0xcc
	v_and_b32_e32 v10, 0xff, v9
	v_mul_lo_u16 v10, 0xf1, v10
	v_lshrrev_b16 v10, 12, v10
	v_mul_lo_u16 v10, v10, 17
	v_sub_nc_u16 v9, v9, v10
	v_lshlrev_b32_sdwa v9, v21, v9 dst_sel:DWORD dst_unused:UNUSED_PAD src0_sel:DWORD src1_sel:BYTE_0
	global_load_dword v10, v9, s[12:13]
	v_add3_u32 v9, 0, v9, v26
	v_add_nc_u32_e32 v9, 0x400, v9
	s_waitcnt vmcnt(0)
	v_mul_f16_sdwa v11, v29, v10 dst_sel:DWORD dst_unused:UNUSED_PAD src0_sel:DWORD src1_sel:WORD_1
	v_mul_f16_sdwa v12, v8, v10 dst_sel:DWORD dst_unused:UNUSED_PAD src0_sel:DWORD src1_sel:WORD_1
	v_fma_f16 v8, v8, v10, -v11
	v_fmac_f16_e32 v12, v29, v10
	v_sub_f16_e32 v8, v7, v8
	v_sub_f16_e32 v10, v28, v12
	v_fma_f16 v7, v7, 2.0, -v8
	v_fma_f16 v11, v28, 2.0, -v10
	v_pack_b32_f16 v8, v8, v10
	v_pack_b32_f16 v7, v7, v11
	ds_write2_b32 v9, v7, v8 offset0:152 offset1:169
.LBB0_26:
	s_or_b32 exec_lo, exec_lo, s1
	v_mul_u32_u24_e32 v7, 12, v3
	s_waitcnt lgkmcnt(0)
	s_barrier
	buffer_gl0_inv
	v_add_nc_u32_e32 v8, 0x200, v4
	v_lshlrev_b32_e32 v7, 2, v7
	s_clause 0x2
	global_load_dwordx4 v[17:20], v7, s[12:13] offset:68
	global_load_dwordx4 v[31:34], v7, s[12:13] offset:84
	;; [unrolled: 1-line block ×3, first 2 shown]
	ds_read2_b32 v[10:11], v4 offset0:170 offset1:204
	ds_read2_b32 v[28:29], v4 offset0:34 offset1:68
	v_add_nc_u32_e32 v7, 0x400, v4
	ds_read2_b32 v[39:40], v4 offset0:102 offset1:136
	ds_read2_b32 v[41:42], v8 offset0:110 offset1:144
	;; [unrolled: 1-line block ×4, first 2 shown]
	ds_read_b32 v22, v25
	s_waitcnt vmcnt(0) lgkmcnt(0)
	s_barrier
	buffer_gl0_inv
	v_lshrrev_b32_e32 v21, 16, v10
	v_lshrrev_b32_e32 v47, 16, v11
	;; [unrolled: 1-line block ×12, first 2 shown]
	v_mul_f16_sdwa v56, v17, v28 dst_sel:DWORD dst_unused:UNUSED_PAD src0_sel:WORD_1 src1_sel:DWORD
	v_mul_f16_sdwa v30, v17, v25 dst_sel:DWORD dst_unused:UNUSED_PAD src0_sel:WORD_1 src1_sel:DWORD
	;; [unrolled: 1-line block ×3, first 2 shown]
	v_mul_f16_sdwa v61, v21, v31 dst_sel:DWORD dst_unused:UNUSED_PAD src0_sel:DWORD src1_sel:WORD_1
	v_mul_f16_sdwa v62, v47, v32 dst_sel:DWORD dst_unused:UNUSED_PAD src0_sel:DWORD src1_sel:WORD_1
	;; [unrolled: 1-line block ×3, first 2 shown]
	v_fmac_f16_e32 v56, v17, v25
	v_mul_f16_sdwa v57, v18, v26 dst_sel:DWORD dst_unused:UNUSED_PAD src0_sel:WORD_1 src1_sel:DWORD
	v_mul_f16_sdwa v27, v19, v39 dst_sel:DWORD dst_unused:UNUSED_PAD src0_sel:WORD_1 src1_sel:DWORD
	v_mul_f16_sdwa v23, v10, v31 dst_sel:DWORD dst_unused:UNUSED_PAD src0_sel:DWORD src1_sel:WORD_1
	v_mul_f16_sdwa v13, v44, v36 dst_sel:DWORD dst_unused:UNUSED_PAD src0_sel:DWORD src1_sel:WORD_1
	v_fma_f16 v28, v17, v28, -v30
	v_fmac_f16_e32 v58, v18, v26
	v_fma_f16 v25, v10, v31, -v61
	v_fma_f16 v10, v11, v32, -v62
	v_fmac_f16_e32 v8, v47, v32
	v_add_f16_sdwa v32, v56, v22 dst_sel:DWORD dst_unused:UNUSED_PAD src0_sel:DWORD src1_sel:WORD_1
	v_mul_f16_sdwa v59, v19, v48 dst_sel:DWORD dst_unused:UNUSED_PAD src0_sel:WORD_1 src1_sel:DWORD
	v_mul_f16_sdwa v24, v20, v40 dst_sel:DWORD dst_unused:UNUSED_PAD src0_sel:WORD_1 src1_sel:DWORD
	v_mul_f16_sdwa v64, v51, v34 dst_sel:DWORD dst_unused:UNUSED_PAD src0_sel:DWORD src1_sel:WORD_1
	v_mul_f16_sdwa v12, v43, v35 dst_sel:DWORD dst_unused:UNUSED_PAD src0_sel:DWORD src1_sel:WORD_1
	;; [unrolled: 1-line block ×5, first 2 shown]
	v_fma_f16 v57, v18, v29, -v57
	v_fmac_f16_e32 v27, v19, v48
	v_fmac_f16_e32 v23, v21, v31
	;; [unrolled: 1-line block ×3, first 2 shown]
	v_add_f16_e32 v31, v28, v22
	v_add_f16_e32 v32, v32, v58
	v_mul_f16_sdwa v60, v20, v49 dst_sel:DWORD dst_unused:UNUSED_PAD src0_sel:WORD_1 src1_sel:DWORD
	v_mul_f16_sdwa v63, v50, v33 dst_sel:DWORD dst_unused:UNUSED_PAD src0_sel:DWORD src1_sel:WORD_1
	v_mul_f16_sdwa v16, v42, v34 dst_sel:DWORD dst_unused:UNUSED_PAD src0_sel:DWORD src1_sel:WORD_1
	;; [unrolled: 1-line block ×5, first 2 shown]
	v_fma_f16 v30, v19, v39, -v59
	v_fmac_f16_e32 v24, v20, v49
	v_fma_f16 v21, v42, v34, -v64
	v_fmac_f16_e32 v12, v52, v35
	v_fma_f16 v19, v44, v36, -v66
	v_fma_f16 v17, v46, v38, -v68
	v_fmac_f16_e32 v15, v55, v38
	v_add_f16_e32 v42, v27, v13
	v_sub_f16_e32 v44, v27, v13
	v_add_f16_e32 v31, v31, v57
	v_add_f16_e32 v27, v32, v27
	v_mul_f16_sdwa v9, v41, v33 dst_sel:DWORD dst_unused:UNUSED_PAD src0_sel:DWORD src1_sel:WORD_1
	v_fma_f16 v26, v20, v40, -v60
	v_fma_f16 v11, v41, v33, -v63
	v_fmac_f16_e32 v16, v51, v34
	v_fma_f16 v20, v43, v35, -v65
	v_fma_f16 v18, v45, v37, -v67
	v_fmac_f16_e32 v14, v54, v37
	v_sub_f16_e32 v35, v28, v17
	v_sub_f16_e32 v36, v56, v15
	v_add_f16_e32 v41, v30, v19
	v_sub_f16_e32 v43, v30, v19
	v_add_f16_e32 v46, v24, v12
	;; [unrolled: 2-line block ×3, first 2 shown]
	v_add_f16_e32 v24, v27, v24
	v_fmac_f16_e32 v9, v50, v33
	v_add_f16_e32 v33, v28, v17
	v_add_f16_e32 v34, v56, v15
	;; [unrolled: 1-line block ×3, first 2 shown]
	v_sub_f16_e32 v39, v57, v18
	v_sub_f16_e32 v40, v58, v14
	v_add_f16_e32 v45, v26, v20
	v_sub_f16_e32 v47, v26, v20
	v_add_f16_e32 v29, v23, v16
	v_sub_f16_e32 v50, v23, v16
	v_mul_f16_e32 v51, 0xb770, v36
	v_mul_f16_e32 v52, 0xb770, v35
	;; [unrolled: 1-line block ×7, first 2 shown]
	v_add_f16_e32 v26, v30, v26
	v_add_f16_e32 v23, v24, v23
	;; [unrolled: 1-line block ×4, first 2 shown]
	v_sub_f16_e32 v49, v25, v21
	v_mul_f16_e32 v58, 0xbb7b, v35
	v_mul_f16_e32 v59, 0xb94e, v36
	;; [unrolled: 1-line block ×11, first 2 shown]
	v_fma_f16 v31, v33, 0x3b15, -v51
	v_fmamk_f16 v32, v34, 0x3b15, v52
	v_fmac_f16_e32 v51, 0x3b15, v33
	v_fma_f16 v52, v34, 0x3b15, -v52
	v_fma_f16 v99, v33, 0x388b, -v53
	v_fmamk_f16 v100, v34, 0x388b, v54
	v_fmac_f16_e32 v53, 0x388b, v33
	v_fma_f16 v101, v33, 0x2fb7, -v55
	v_fmamk_f16 v102, v34, 0x2fb7, v56
	v_fmac_f16_e32 v55, 0x2fb7, v33
	v_fma_f16 v103, v33, 0xb5ac, -v57
	v_add_f16_e32 v25, v26, v25
	v_add_f16_e32 v23, v23, v8
	v_mul_f16_e32 v66, 0xb3a8, v39
	v_mul_f16_e32 v68, 0x394e, v39
	v_mul_f16_e32 v69, 0x3bf1, v40
	v_mul_f16_e32 v70, 0x3bf1, v39
	v_mul_f16_e32 v40, 0x3770, v40
	v_mul_f16_e32 v39, 0x3770, v39
	v_mul_f16_e32 v73, 0xb3a8, v44
	v_mul_f16_e32 v74, 0xb3a8, v43
	v_mul_f16_e32 v75, 0x3b7b, v44
	v_mul_f16_e32 v77, 0x3770, v44
	v_fma_f16 v54, v34, 0x388b, -v54
	v_fma_f16 v56, v34, 0x2fb7, -v56
	v_fmamk_f16 v104, v34, 0xb5ac, v58
	v_fmac_f16_e32 v57, 0xb5ac, v33
	v_fma_f16 v58, v34, 0xb5ac, -v58
	v_fma_f16 v105, v33, 0xb9fd, -v59
	v_fmamk_f16 v106, v34, 0xb9fd, v60
	v_fmac_f16_e32 v59, 0xb9fd, v33
	v_fma_f16 v60, v34, 0xb9fd, -v60
	v_fma_f16 v107, v33, 0xbbc4, -v36
	v_fmamk_f16 v108, v34, 0xbbc4, v35
	v_fmac_f16_e32 v36, 0xbbc4, v33
	v_fma_f16 v33, v34, 0xbbc4, -v35
	v_fma_f16 v34, v37, 0x388b, -v61
	v_fmamk_f16 v35, v38, 0x388b, v62
	v_fmac_f16_e32 v61, 0x388b, v37
	v_fma_f16 v62, v38, 0x388b, -v62
	v_fma_f16 v109, v37, 0xb5ac, -v63
	v_fmamk_f16 v110, v38, 0xb5ac, v64
	v_fmac_f16_e32 v63, 0xb5ac, v37
	v_fma_f16 v111, v37, 0xbbc4, -v65
	v_fmac_f16_e32 v65, 0xbbc4, v37
	v_fma_f16 v113, v37, 0xb9fd, -v67
	v_add_f16_e32 v27, v31, v22
	v_add_f16_sdwa v31, v32, v22 dst_sel:DWORD dst_unused:UNUSED_PAD src0_sel:DWORD src1_sel:WORD_1
	v_add_f16_e32 v32, v51, v22
	v_add_f16_sdwa v51, v52, v22 dst_sel:DWORD dst_unused:UNUSED_PAD src0_sel:DWORD src1_sel:WORD_1
	;; [unrolled: 2-line block ×3, first 2 shown]
	v_add_f16_e32 v53, v53, v22
	v_add_f16_e32 v100, v101, v22
	v_add_f16_sdwa v101, v102, v22 dst_sel:DWORD dst_unused:UNUSED_PAD src0_sel:DWORD src1_sel:WORD_1
	v_add_f16_e32 v55, v55, v22
	v_add_f16_e32 v102, v103, v22
	;; [unrolled: 1-line block ×4, first 2 shown]
	v_mul_f16_e32 v71, 0xbbf1, v44
	v_mul_f16_e32 v72, 0xbbf1, v43
	;; [unrolled: 1-line block ×11, first 2 shown]
	v_fma_f16 v64, v38, 0xb5ac, -v64
	v_fmamk_f16 v112, v38, 0xbbc4, v66
	v_fma_f16 v66, v38, 0xbbc4, -v66
	v_fmamk_f16 v114, v38, 0xb9fd, v68
	v_fmac_f16_e32 v67, 0xb9fd, v37
	v_fma_f16 v68, v38, 0xb9fd, -v68
	v_fma_f16 v115, v37, 0x2fb7, -v69
	v_fmac_f16_e32 v69, 0x2fb7, v37
	v_fma_f16 v117, v37, 0x3b15, -v40
	v_fmac_f16_e32 v40, 0x3b15, v37
	v_fma_f16 v37, v38, 0x3b15, -v39
	v_fma_f16 v119, v41, 0xbbc4, -v73
	v_fmamk_f16 v120, v42, 0xbbc4, v74
	v_fma_f16 v121, v41, 0xb5ac, -v75
	v_fma_f16 v123, v41, 0x3b15, -v77
	v_add_f16_sdwa v54, v54, v22 dst_sel:DWORD dst_unused:UNUSED_PAD src0_sel:DWORD src1_sel:WORD_1
	v_add_f16_sdwa v56, v56, v22 dst_sel:DWORD dst_unused:UNUSED_PAD src0_sel:DWORD src1_sel:WORD_1
	;; [unrolled: 1-line block ×3, first 2 shown]
	v_add_f16_e32 v57, v57, v22
	v_add_f16_sdwa v58, v58, v22 dst_sel:DWORD dst_unused:UNUSED_PAD src0_sel:DWORD src1_sel:WORD_1
	v_add_f16_e32 v104, v105, v22
	v_add_f16_sdwa v105, v106, v22 dst_sel:DWORD dst_unused:UNUSED_PAD src0_sel:DWORD src1_sel:WORD_1
	;; [unrolled: 2-line block ×5, first 2 shown]
	v_add_f16_e32 v24, v34, v27
	v_add_f16_e32 v26, v35, v31
	;; [unrolled: 1-line block ×12, first 2 shown]
	v_mul_f16_e32 v81, 0xbb7b, v48
	v_mul_f16_e32 v82, 0xbb7b, v47
	;; [unrolled: 1-line block ×7, first 2 shown]
	v_fmamk_f16 v116, v38, 0x2fb7, v70
	v_fma_f16 v70, v38, 0x2fb7, -v70
	v_fmamk_f16 v118, v38, 0x3b15, v39
	v_fma_f16 v38, v41, 0x2fb7, -v71
	v_fmamk_f16 v39, v42, 0x2fb7, v72
	v_fmac_f16_e32 v71, 0x2fb7, v41
	v_fma_f16 v72, v42, 0x2fb7, -v72
	v_fmac_f16_e32 v73, 0xbbc4, v41
	v_fma_f16 v74, v42, 0xbbc4, -v74
	v_fmamk_f16 v122, v42, 0xb5ac, v76
	v_fmac_f16_e32 v75, 0xb5ac, v41
	v_fma_f16 v76, v42, 0xb5ac, -v76
	v_fmamk_f16 v124, v42, 0x3b15, v78
	v_fmac_f16_e32 v77, 0x3b15, v41
	v_fma_f16 v78, v42, 0x3b15, -v78
	v_fma_f16 v125, v41, 0x388b, -v79
	v_fmac_f16_e32 v79, 0x388b, v41
	v_fma_f16 v127, v41, 0xb9fd, -v44
	v_fmac_f16_e32 v44, 0xb9fd, v41
	v_fma_f16 v41, v42, 0xb9fd, -v43
	v_fma_f16 v129, v45, 0xb9fd, -v83
	v_fmamk_f16 v130, v46, 0xb9fd, v84
	v_fma_f16 v133, v45, 0x2fb7, -v87
	v_add_f16_e32 v35, v64, v54
	v_add_f16_e32 v52, v112, v101
	;; [unrolled: 1-line block ×12, first 2 shown]
	v_mul_f16_e32 v85, 0x3770, v48
	v_mul_f16_e32 v89, 0x33a8, v48
	;; [unrolled: 1-line block ×9, first 2 shown]
	v_fmamk_f16 v126, v42, 0x388b, v80
	v_fma_f16 v80, v42, 0x388b, -v80
	v_fmamk_f16 v128, v42, 0xb9fd, v43
	v_fma_f16 v42, v45, 0xb5ac, -v81
	;; [unrolled: 2-line block ×3, first 2 shown]
	v_fma_f16 v84, v46, 0xb9fd, -v84
	v_fmamk_f16 v132, v46, 0x3b15, v86
	v_fma_f16 v86, v46, 0x3b15, -v86
	v_fmamk_f16 v134, v46, 0x2fb7, v88
	v_fmac_f16_e32 v87, 0x2fb7, v45
	v_fma_f16 v88, v46, 0x2fb7, -v88
	v_fma_f16 v139, v28, 0x2fb7, -v93
	v_fmamk_f16 v140, v29, 0x2fb7, v94
	v_fma_f16 v143, v28, 0xbbc4, -v97
	v_add_f16_e32 v36, v40, v36
	v_add_f16_e32 v24, v38, v24
	v_add_f16_e32 v26, v39, v26
	v_add_f16_e32 v31, v72, v31
	v_add_f16_e32 v35, v74, v35
	v_add_f16_e32 v38, v122, v52
	v_add_f16_e32 v39, v75, v53
	v_add_f16_e32 v40, v76, v54
	v_add_f16_e32 v53, v77, v57
	v_add_f16_e32 v54, v78, v58
	v_add_f16_e32 v22, v41, v22
	v_add_f16_e32 v32, v129, v32
	v_add_f16_e32 v33, v130, v33
	v_add_f16_e32 v41, v133, v51
	v_add_f16_e32 v20, v21, v20
	v_add_f16_e32 v12, v12, v13
	v_mul_f16_e32 v95, 0xba95, v50
	v_fmac_f16_e32 v81, 0xb5ac, v45
	v_fmac_f16_e32 v83, 0xb9fd, v45
	v_fma_f16 v131, v45, 0x3b15, -v85
	v_fmac_f16_e32 v85, 0x3b15, v45
	v_fma_f16 v135, v45, 0xbbc4, -v89
	v_fmamk_f16 v136, v46, 0xbbc4, v90
	v_fmac_f16_e32 v89, 0xbbc4, v45
	v_fma_f16 v90, v46, 0xbbc4, -v90
	v_fma_f16 v137, v45, 0x388b, -v48
	v_fmac_f16_e32 v48, 0x388b, v45
	v_fmamk_f16 v45, v46, 0x388b, v47
	v_fma_f16 v46, v46, 0x388b, -v47
	v_fma_f16 v47, v28, 0xb9fd, -v91
	v_fmamk_f16 v138, v29, 0xb9fd, v92
	v_fma_f16 v92, v29, 0xb9fd, -v92
	v_fma_f16 v94, v29, 0x2fb7, -v94
	v_fmamk_f16 v142, v29, 0x388b, v96
	v_fma_f16 v96, v29, 0x388b, -v96
	v_add_f16_e32 v27, v71, v27
	v_add_f16_e32 v34, v73, v34
	;; [unrolled: 1-line block ×16, first 2 shown]
	v_fmac_f16_e32 v97, 0xbbc4, v28
	v_fma_f16 v33, v29, 0xbbc4, -v98
	v_sub_f16_e32 v41, v8, v9
	v_fmac_f16_e32 v91, 0xb9fd, v28
	v_fmac_f16_e32 v93, 0x2fb7, v28
	v_fma_f16 v141, v28, 0x388b, -v95
	v_fmac_f16_e32 v95, 0x388b, v28
	v_add_f16_e32 v27, v81, v27
	v_add_f16_e32 v34, v83, v34
	;; [unrolled: 1-line block ×11, first 2 shown]
	v_mul_f16_e32 v15, 0x3770, v50
	v_add_f16_e32 v35, v97, v43
	v_add_f16_e32 v33, v33, v44
	v_mul_f16_e32 v38, 0xbb7b, v50
	v_mul_f16_e32 v40, 0xbb7b, v49
	v_add_f16_e32 v43, v10, v11
	v_mul_f16_e32 v44, 0xb3a8, v41
	v_sub_f16_e32 v10, v10, v11
	v_add_f16_e32 v56, v114, v103
	v_add_f16_e32 v22, v46, v22
	;; [unrolled: 1-line block ×5, first 2 shown]
	v_fma_f16 v34, v28, 0x3b15, -v15
	v_fmac_f16_e32 v15, 0x3b15, v28
	v_fma_f16 v39, v28, 0xb5ac, -v38
	v_fmac_f16_e32 v38, 0xb5ac, v28
	v_fma_f16 v11, v29, 0xb5ac, -v40
	v_add_f16_e32 v8, v8, v9
	v_fma_f16 v9, v43, 0xbbc4, -v44
	v_mul_f16_e32 v28, 0xb3a8, v10
	v_add_f16_e32 v52, v124, v56
	v_add_f16_e32 v36, v48, v36
	;; [unrolled: 1-line block ×4, first 2 shown]
	v_fmamk_f16 v22, v8, 0xbbc4, v28
	v_mul_f16_e32 v23, 0x3770, v41
	v_fmamk_f16 v30, v29, 0xbbc4, v98
	v_add_f16_e32 v60, v70, v60
	v_add_f16_e32 v64, v118, v107
	;; [unrolled: 1-line block ×4, first 2 shown]
	v_fma_f16 v28, v8, 0xbbc4, -v28
	v_mul_f16_e32 v38, 0x3770, v10
	v_add_f16_e32 v22, v22, v24
	v_fma_f16 v24, v43, 0x3b15, -v23
	v_add_f16_e32 v58, v80, v60
	v_add_f16_e32 v60, v128, v64
	;; [unrolled: 1-line block ×4, first 2 shown]
	v_fmamk_f16 v42, v29, 0xb5ac, v40
	v_add_f16_e32 v26, v28, v26
	v_fmamk_f16 v28, v8, 0x3b15, v38
	v_mul_f16_e32 v40, 0xb94e, v41
	v_add_f16_e32 v16, v24, v16
	v_fma_f16 v24, v8, 0x3b15, -v38
	v_add_f16_e32 v61, v115, v104
	v_add_f16_e32 v45, v45, v60
	;; [unrolled: 1-line block ×4, first 2 shown]
	v_mul_f16_e32 v18, 0x3770, v49
	v_fmac_f16_e32 v23, 0x3b15, v43
	v_add_f16_e32 v21, v28, v21
	v_fma_f16 v28, v43, 0xb9fd, -v40
	v_mul_f16_e32 v38, 0xb94e, v10
	v_add_f16_e32 v13, v24, v13
	v_mul_f16_e32 v24, 0x3a95, v41
	v_add_f16_e32 v59, v69, v59
	v_add_f16_e32 v62, v116, v105
	;; [unrolled: 1-line block ×3, first 2 shown]
	v_fmamk_f16 v37, v29, 0x3b15, v18
	v_fma_f16 v18, v29, 0x3b15, -v18
	v_add_f16_e32 v29, v42, v45
	v_add_f16_e32 v23, v23, v27
	;; [unrolled: 1-line block ×3, first 2 shown]
	v_fmamk_f16 v27, v8, 0xb9fd, v38
	v_fma_f16 v28, v8, 0xb9fd, -v38
	v_fma_f16 v38, v43, 0x388b, -v24
	v_mul_f16_e32 v42, 0x3a95, v10
	v_add_f16_e32 v57, v79, v59
	v_add_f16_e32 v63, v117, v106
	;; [unrolled: 1-line block ×4, first 2 shown]
	v_fmac_f16_e32 v40, 0xb9fd, v43
	v_add_f16_e32 v27, v27, v31
	v_add_f16_e32 v19, v28, v19
	v_add_f16_e32 v28, v38, v32
	v_fmamk_f16 v31, v8, 0x388b, v42
	v_mul_f16_e32 v32, 0xbb7b, v41
	v_add_f16_e32 v53, v89, v57
	v_add_f16_e32 v59, v127, v63
	;; [unrolled: 1-line block ×5, first 2 shown]
	v_fmac_f16_e32 v24, 0x388b, v43
	v_mul_f16_e32 v40, 0xbb7b, v10
	v_add_f16_e32 v30, v31, v30
	v_fma_f16 v31, v43, 0xb5ac, -v32
	v_add_f16_e32 v15, v15, v53
	v_fma_f16 v38, v8, 0x388b, -v42
	v_fmac_f16_e32 v32, 0xb5ac, v43
	v_mul_f16_e32 v10, 0x3bf1, v10
	v_add_f16_e32 v54, v90, v58
	v_add_f16_e32 v55, v137, v59
	;; [unrolled: 1-line block ×4, first 2 shown]
	v_fmamk_f16 v35, v8, 0xb5ac, v40
	v_add_f16_e32 v31, v31, v34
	v_mul_f16_e32 v34, 0x3bf1, v41
	v_add_f16_e32 v33, v38, v33
	v_add_f16_e32 v15, v32, v15
	v_fma_f16 v32, v8, 0xb5ac, -v40
	v_fmamk_f16 v38, v8, 0x2fb7, v10
	v_fma_f16 v8, v8, 0x2fb7, -v10
	v_add_f16_e32 v18, v18, v54
	v_add_f16_e32 v39, v39, v55
	;; [unrolled: 1-line block ×3, first 2 shown]
	v_fma_f16 v37, v43, 0x2fb7, -v34
	v_fmac_f16_e32 v34, 0x2fb7, v43
	v_fmac_f16_e32 v44, 0xbbc4, v43
	v_add_f16_e32 v8, v8, v11
	v_pack_b32_f16 v11, v17, v12
	v_pack_b32_f16 v9, v9, v22
	v_add_f16_e32 v10, v32, v18
	v_add_f16_e32 v18, v37, v39
	;; [unrolled: 1-line block ×4, first 2 shown]
	v_pack_b32_f16 v12, v16, v21
	v_pack_b32_f16 v16, v20, v27
	v_add_f16_e32 v25, v44, v25
	ds_write2_b32 v4, v11, v9 offset1:34
	ds_write2_b32 v4, v12, v16 offset0:68 offset1:102
	v_pack_b32_f16 v9, v28, v30
	v_pack_b32_f16 v11, v31, v35
	;; [unrolled: 1-line block ×9, first 2 shown]
	ds_write2_b32 v4, v9, v11 offset0:136 offset1:170
	ds_write2_b32 v4, v12, v8 offset0:204 offset1:238
	;; [unrolled: 1-line block ×4, first 2 shown]
	ds_write_b32 v4, v16 offset:1632
	s_waitcnt lgkmcnt(0)
	s_barrier
	buffer_gl0_inv
	s_and_saveexec_b32 s0, vcc_lo
	s_cbranch_execz .LBB0_28
; %bb.27:
	v_mul_lo_u32 v7, s3, v5
	v_mul_lo_u32 v8, s2, v6
	v_mad_u64_u32 v[5:6], null, s2, v5, 0
	v_lshl_add_u32 v19, v3, 2, v0
	v_mov_b32_e32 v4, 0
	v_lshlrev_b64 v[0:1], 2, v[1:2]
	v_add_nc_u32_e32 v9, 0x44, v3
	ds_read2_b32 v[11:12], v19 offset1:34
	v_add3_u32 v6, v6, v8, v7
	v_add_nc_u32_e32 v7, 34, v3
	v_mov_b32_e32 v8, v4
	ds_read2_b32 v[15:16], v19 offset0:68 offset1:102
	v_lshlrev_b64 v[13:14], 2, v[3:4]
	v_lshlrev_b64 v[5:6], 2, v[5:6]
	v_mov_b32_e32 v10, v4
	v_add_co_u32 v2, vcc_lo, s10, v5
	v_add_co_ci_u32_e32 v17, vcc_lo, s11, v6, vcc_lo
	v_lshlrev_b64 v[5:6], 2, v[7:8]
	v_add_co_u32 v20, vcc_lo, v2, v0
	v_add_co_ci_u32_e32 v21, vcc_lo, v17, v1, vcc_lo
	v_lshlrev_b64 v[0:1], 2, v[9:10]
	v_add_co_u32 v7, vcc_lo, v20, v13
	v_add_co_ci_u32_e32 v8, vcc_lo, v21, v14, vcc_lo
	v_add_co_u32 v5, vcc_lo, v20, v5
	v_add_nc_u32_e32 v9, 0x66, v3
	ds_read2_b32 v[17:18], v19 offset0:136 offset1:170
	v_add_co_ci_u32_e32 v6, vcc_lo, v21, v6, vcc_lo
	v_add_co_u32 v0, vcc_lo, v20, v0
	v_add_nc_u32_e32 v13, 0x88, v3
	v_mov_b32_e32 v14, v4
	v_add_co_ci_u32_e32 v1, vcc_lo, v21, v1, vcc_lo
	v_lshlrev_b64 v[9:10], 2, v[9:10]
	s_waitcnt lgkmcnt(2)
	global_store_dword v[7:8], v11, off
	global_store_dword v[5:6], v12, off
	s_waitcnt lgkmcnt(1)
	global_store_dword v[0:1], v15, off
	v_lshlrev_b64 v[0:1], 2, v[13:14]
	v_add_nc_u32_e32 v7, 0xaa, v3
	v_mov_b32_e32 v8, v4
	v_add_nc_u32_e32 v11, 0x110, v3
	v_add_co_u32 v5, vcc_lo, v20, v9
	v_add_co_ci_u32_e32 v6, vcc_lo, v21, v10, vcc_lo
	v_add_co_u32 v0, vcc_lo, v20, v0
	v_add_co_ci_u32_e32 v1, vcc_lo, v21, v1, vcc_lo
	v_add_nc_u32_e32 v9, 0xcc, v3
	v_mov_b32_e32 v10, v4
	global_store_dword v[5:6], v16, off
	s_waitcnt lgkmcnt(0)
	global_store_dword v[0:1], v17, off
	ds_read2_b32 v[5:6], v19 offset0:204 offset1:238
	v_lshlrev_b64 v[0:1], 2, v[7:8]
	v_mov_b32_e32 v12, v4
	v_lshlrev_b64 v[7:8], 2, v[9:10]
	v_add_nc_u32_e32 v9, 0xee, v3
	v_add_nc_u32_e32 v2, 0x400, v19
	;; [unrolled: 1-line block ×3, first 2 shown]
	v_add_co_u32 v0, vcc_lo, v20, v0
	v_lshlrev_b64 v[9:10], 2, v[9:10]
	v_add_co_ci_u32_e32 v1, vcc_lo, v21, v1, vcc_lo
	v_add_co_u32 v7, vcc_lo, v20, v7
	v_add_co_ci_u32_e32 v8, vcc_lo, v21, v8, vcc_lo
	v_add_co_u32 v9, vcc_lo, v20, v9
	v_add_co_ci_u32_e32 v10, vcc_lo, v21, v10, vcc_lo
	global_store_dword v[0:1], v18, off
	s_waitcnt lgkmcnt(0)
	global_store_dword v[7:8], v5, off
	global_store_dword v[9:10], v6, off
	v_add_nc_u32_e32 v7, 0x132, v3
	v_mov_b32_e32 v8, v4
	v_lshlrev_b64 v[5:6], 2, v[11:12]
	ds_read2_b32 v[0:1], v2 offset0:16 offset1:50
	v_add_nc_u32_e32 v9, 0x154, v3
	v_mov_b32_e32 v10, v4
	v_lshlrev_b64 v[7:8], 2, v[7:8]
	ds_read2_b32 v[11:12], v2 offset0:84 offset1:118
	ds_read_b32 v15, v19 offset:1632
	v_add_co_u32 v5, vcc_lo, v20, v5
	v_lshlrev_b64 v[9:10], 2, v[9:10]
	v_add_nc_u32_e32 v3, 0x198, v3
	v_add_co_ci_u32_e32 v6, vcc_lo, v21, v6, vcc_lo
	v_add_co_u32 v7, vcc_lo, v20, v7
	v_lshlrev_b64 v[13:14], 2, v[13:14]
	v_add_co_ci_u32_e32 v8, vcc_lo, v21, v8, vcc_lo
	v_add_co_u32 v9, vcc_lo, v20, v9
	v_lshlrev_b64 v[2:3], 2, v[3:4]
	v_add_co_ci_u32_e32 v10, vcc_lo, v21, v10, vcc_lo
	v_add_co_u32 v13, vcc_lo, v20, v13
	v_add_co_ci_u32_e32 v14, vcc_lo, v21, v14, vcc_lo
	v_add_co_u32 v2, vcc_lo, v20, v2
	v_add_co_ci_u32_e32 v3, vcc_lo, v21, v3, vcc_lo
	s_waitcnt lgkmcnt(2)
	global_store_dword v[5:6], v0, off
	global_store_dword v[7:8], v1, off
	s_waitcnt lgkmcnt(1)
	global_store_dword v[9:10], v11, off
	global_store_dword v[13:14], v12, off
	s_waitcnt lgkmcnt(0)
	global_store_dword v[2:3], v15, off
.LBB0_28:
	s_endpgm
	.section	.rodata,"a",@progbits
	.p2align	6, 0x0
	.amdhsa_kernel fft_rtc_fwd_len442_factors_17_2_13_wgs_238_tpt_34_halfLds_half_op_CI_CI_unitstride_sbrr_C2R_dirReg
		.amdhsa_group_segment_fixed_size 0
		.amdhsa_private_segment_fixed_size 0
		.amdhsa_kernarg_size 104
		.amdhsa_user_sgpr_count 6
		.amdhsa_user_sgpr_private_segment_buffer 1
		.amdhsa_user_sgpr_dispatch_ptr 0
		.amdhsa_user_sgpr_queue_ptr 0
		.amdhsa_user_sgpr_kernarg_segment_ptr 1
		.amdhsa_user_sgpr_dispatch_id 0
		.amdhsa_user_sgpr_flat_scratch_init 0
		.amdhsa_user_sgpr_private_segment_size 0
		.amdhsa_wavefront_size32 1
		.amdhsa_uses_dynamic_stack 0
		.amdhsa_system_sgpr_private_segment_wavefront_offset 0
		.amdhsa_system_sgpr_workgroup_id_x 1
		.amdhsa_system_sgpr_workgroup_id_y 0
		.amdhsa_system_sgpr_workgroup_id_z 0
		.amdhsa_system_sgpr_workgroup_info 0
		.amdhsa_system_vgpr_workitem_id 0
		.amdhsa_next_free_vgpr 144
		.amdhsa_next_free_sgpr 27
		.amdhsa_reserve_vcc 1
		.amdhsa_reserve_flat_scratch 0
		.amdhsa_float_round_mode_32 0
		.amdhsa_float_round_mode_16_64 0
		.amdhsa_float_denorm_mode_32 3
		.amdhsa_float_denorm_mode_16_64 3
		.amdhsa_dx10_clamp 1
		.amdhsa_ieee_mode 1
		.amdhsa_fp16_overflow 0
		.amdhsa_workgroup_processor_mode 1
		.amdhsa_memory_ordered 1
		.amdhsa_forward_progress 0
		.amdhsa_shared_vgpr_count 0
		.amdhsa_exception_fp_ieee_invalid_op 0
		.amdhsa_exception_fp_denorm_src 0
		.amdhsa_exception_fp_ieee_div_zero 0
		.amdhsa_exception_fp_ieee_overflow 0
		.amdhsa_exception_fp_ieee_underflow 0
		.amdhsa_exception_fp_ieee_inexact 0
		.amdhsa_exception_int_div_zero 0
	.end_amdhsa_kernel
	.text
.Lfunc_end0:
	.size	fft_rtc_fwd_len442_factors_17_2_13_wgs_238_tpt_34_halfLds_half_op_CI_CI_unitstride_sbrr_C2R_dirReg, .Lfunc_end0-fft_rtc_fwd_len442_factors_17_2_13_wgs_238_tpt_34_halfLds_half_op_CI_CI_unitstride_sbrr_C2R_dirReg
                                        ; -- End function
	.section	.AMDGPU.csdata,"",@progbits
; Kernel info:
; codeLenInByte = 13664
; NumSgprs: 29
; NumVgprs: 144
; ScratchSize: 0
; MemoryBound: 0
; FloatMode: 240
; IeeeMode: 1
; LDSByteSize: 0 bytes/workgroup (compile time only)
; SGPRBlocks: 3
; VGPRBlocks: 17
; NumSGPRsForWavesPerEU: 29
; NumVGPRsForWavesPerEU: 144
; Occupancy: 7
; WaveLimiterHint : 1
; COMPUTE_PGM_RSRC2:SCRATCH_EN: 0
; COMPUTE_PGM_RSRC2:USER_SGPR: 6
; COMPUTE_PGM_RSRC2:TRAP_HANDLER: 0
; COMPUTE_PGM_RSRC2:TGID_X_EN: 1
; COMPUTE_PGM_RSRC2:TGID_Y_EN: 0
; COMPUTE_PGM_RSRC2:TGID_Z_EN: 0
; COMPUTE_PGM_RSRC2:TIDIG_COMP_CNT: 0
	.text
	.p2alignl 6, 3214868480
	.fill 48, 4, 3214868480
	.type	__hip_cuid_b6735f160349742d,@object ; @__hip_cuid_b6735f160349742d
	.section	.bss,"aw",@nobits
	.globl	__hip_cuid_b6735f160349742d
__hip_cuid_b6735f160349742d:
	.byte	0                               ; 0x0
	.size	__hip_cuid_b6735f160349742d, 1

	.ident	"AMD clang version 19.0.0git (https://github.com/RadeonOpenCompute/llvm-project roc-6.4.0 25133 c7fe45cf4b819c5991fe208aaa96edf142730f1d)"
	.section	".note.GNU-stack","",@progbits
	.addrsig
	.addrsig_sym __hip_cuid_b6735f160349742d
	.amdgpu_metadata
---
amdhsa.kernels:
  - .args:
      - .actual_access:  read_only
        .address_space:  global
        .offset:         0
        .size:           8
        .value_kind:     global_buffer
      - .offset:         8
        .size:           8
        .value_kind:     by_value
      - .actual_access:  read_only
        .address_space:  global
        .offset:         16
        .size:           8
        .value_kind:     global_buffer
      - .actual_access:  read_only
        .address_space:  global
        .offset:         24
        .size:           8
        .value_kind:     global_buffer
      - .actual_access:  read_only
        .address_space:  global
        .offset:         32
        .size:           8
        .value_kind:     global_buffer
      - .offset:         40
        .size:           8
        .value_kind:     by_value
      - .actual_access:  read_only
        .address_space:  global
        .offset:         48
        .size:           8
        .value_kind:     global_buffer
      - .actual_access:  read_only
        .address_space:  global
        .offset:         56
        .size:           8
        .value_kind:     global_buffer
      - .offset:         64
        .size:           4
        .value_kind:     by_value
      - .actual_access:  read_only
        .address_space:  global
        .offset:         72
        .size:           8
        .value_kind:     global_buffer
      - .actual_access:  read_only
        .address_space:  global
        .offset:         80
        .size:           8
        .value_kind:     global_buffer
      - .actual_access:  read_only
        .address_space:  global
        .offset:         88
        .size:           8
        .value_kind:     global_buffer
      - .actual_access:  write_only
        .address_space:  global
        .offset:         96
        .size:           8
        .value_kind:     global_buffer
    .group_segment_fixed_size: 0
    .kernarg_segment_align: 8
    .kernarg_segment_size: 104
    .language:       OpenCL C
    .language_version:
      - 2
      - 0
    .max_flat_workgroup_size: 238
    .name:           fft_rtc_fwd_len442_factors_17_2_13_wgs_238_tpt_34_halfLds_half_op_CI_CI_unitstride_sbrr_C2R_dirReg
    .private_segment_fixed_size: 0
    .sgpr_count:     29
    .sgpr_spill_count: 0
    .symbol:         fft_rtc_fwd_len442_factors_17_2_13_wgs_238_tpt_34_halfLds_half_op_CI_CI_unitstride_sbrr_C2R_dirReg.kd
    .uniform_work_group_size: 1
    .uses_dynamic_stack: false
    .vgpr_count:     144
    .vgpr_spill_count: 0
    .wavefront_size: 32
    .workgroup_processor_mode: 1
amdhsa.target:   amdgcn-amd-amdhsa--gfx1030
amdhsa.version:
  - 1
  - 2
...

	.end_amdgpu_metadata
